;; amdgpu-corpus repo=ROCm/rocFFT kind=compiled arch=gfx950 opt=O3
	.text
	.amdgcn_target "amdgcn-amd-amdhsa--gfx950"
	.amdhsa_code_object_version 6
	.protected	bluestein_single_back_len1989_dim1_half_op_CI_CI ; -- Begin function bluestein_single_back_len1989_dim1_half_op_CI_CI
	.globl	bluestein_single_back_len1989_dim1_half_op_CI_CI
	.p2align	8
	.type	bluestein_single_back_len1989_dim1_half_op_CI_CI,@function
bluestein_single_back_len1989_dim1_half_op_CI_CI: ; @bluestein_single_back_len1989_dim1_half_op_CI_CI
; %bb.0:
	s_load_dwordx4 s[4:7], s[0:1], 0x28
	v_mul_u32_u24_e32 v1, 0x1ad, v0
	v_mov_b32_e32 v31, 0
	v_add_u32_sdwa v32, s2, v1 dst_sel:DWORD dst_unused:UNUSED_PAD src0_sel:DWORD src1_sel:WORD_1
	v_mov_b32_e32 v33, v31
	s_waitcnt lgkmcnt(0)
	v_cmp_gt_u64_e32 vcc, s[4:5], v[32:33]
	s_and_saveexec_b64 s[2:3], vcc
	s_cbranch_execz .LBB0_23
; %bb.1:
	s_load_dwordx2 s[12:13], s[0:1], 0x0
	s_load_dwordx2 s[14:15], s[0:1], 0x38
	s_movk_i32 s2, 0x99
	v_mul_lo_u16_sdwa v1, v1, s2 dst_sel:DWORD dst_unused:UNUSED_PAD src0_sel:WORD_1 src1_sel:DWORD
	v_sub_u16_e32 v30, v0, v1
	s_movk_i32 s2, 0x75
	v_cmp_gt_u16_e64 s[4:5], s2, v30
	v_lshlrev_b32_e32 v28, 2, v30
	s_and_saveexec_b64 s[2:3], s[4:5]
	s_cbranch_execz .LBB0_3
; %bb.2:
	s_load_dwordx2 s[8:9], s[0:1], 0x18
	v_mov_b32_e32 v0, s6
	v_mov_b32_e32 v1, s7
	;; [unrolled: 1-line block ×3, first 2 shown]
	s_waitcnt lgkmcnt(0)
	s_load_dwordx4 s[8:11], s[8:9], 0x0
	s_waitcnt lgkmcnt(0)
	v_mad_u64_u32 v[2:3], s[6:7], s10, v32, 0
	v_mad_u64_u32 v[4:5], s[6:7], s8, v30, 0
	v_mov_b32_e32 v6, v3
	v_mov_b32_e32 v8, v5
	v_mad_u64_u32 v[6:7], s[6:7], s11, v32, v[6:7]
	v_mov_b32_e32 v3, v6
	v_mad_u64_u32 v[6:7], s[6:7], s9, v30, v[8:9]
	v_mov_b32_e32 v5, v6
	v_lshl_add_u64 v[0:1], v[2:3], 2, v[0:1]
	v_lshl_add_u64 v[0:1], v[4:5], 2, v[0:1]
	v_mov_b32_e32 v5, 0x1d4
	global_load_dword v4, v[0:1], off
	v_mad_u64_u32 v[0:1], s[6:7], s8, v5, v[0:1]
	s_mul_i32 s6, s9, 0x1d4
	global_load_dword v6, v28, s[12:13]
	v_add_u32_e32 v1, s6, v1
	global_load_dword v7, v[0:1], off
	global_load_dword v8, v28, s[12:13] offset:468
	v_mad_u64_u32 v[0:1], s[10:11], s8, v5, v[0:1]
	v_add_u32_e32 v1, s6, v1
	global_load_dword v9, v[0:1], off
	global_load_dword v10, v28, s[12:13] offset:936
	v_mad_u64_u32 v[0:1], s[10:11], s8, v5, v[0:1]
	;; [unrolled: 4-line block ×3, first 2 shown]
	v_add_u32_e32 v1, s6, v1
	global_load_dword v13, v[0:1], off
	global_load_dword v14, v28, s[12:13] offset:1872
	global_load_dword v15, v28, s[12:13] offset:2340
	;; [unrolled: 1-line block ×5, first 2 shown]
	v_mad_u64_u32 v[0:1], s[10:11], s8, v5, v[0:1]
	v_add_u32_e32 v1, s6, v1
	global_load_dword v19, v[0:1], off
	v_mad_u64_u32 v[0:1], s[10:11], s8, v5, v[0:1]
	v_add_u32_e32 v1, s6, v1
	global_load_dword v20, v[0:1], off
	v_mad_u64_u32 v[0:1], s[10:11], s8, v5, v[0:1]
	v_add_u32_e32 v1, s6, v1
	global_load_dword v21, v[0:1], off
	v_mad_u64_u32 v[0:1], s[10:11], s8, v5, v[0:1]
	v_add_u32_e32 v1, s6, v1
	global_load_dword v22, v[0:1], off
	s_movk_i32 s7, 0x1000
	v_lshl_add_u64 v[2:3], s[12:13], 0, v[28:29]
	v_mad_u64_u32 v[0:1], s[10:11], s8, v5, v[0:1]
	v_add_co_u32_e32 v2, vcc, s7, v2
	v_add_u32_e32 v1, s6, v1
	s_nop 0
	v_addc_co_u32_e32 v3, vcc, 0, v3, vcc
	global_load_dword v23, v[0:1], off
	v_mad_u64_u32 v[0:1], s[10:11], s8, v5, v[0:1]
	v_add_u32_e32 v1, s6, v1
	global_load_dword v24, v[0:1], off
	v_mad_u64_u32 v[0:1], s[10:11], s8, v5, v[0:1]
	v_add_u32_e32 v1, s6, v1
	;; [unrolled: 3-line block ×3, first 2 shown]
	s_waitcnt vmcnt(20)
	v_lshrrev_b32_e32 v26, 16, v4
	s_waitcnt vmcnt(19)
	v_mul_f16_sdwa v27, v6, v4 dst_sel:DWORD dst_unused:UNUSED_PAD src0_sel:WORD_1 src1_sel:DWORD
	v_mul_f16_sdwa v29, v6, v26 dst_sel:DWORD dst_unused:UNUSED_PAD src0_sel:WORD_1 src1_sel:DWORD
	v_fma_f16 v26, v6, v26, -v27
	v_fma_f16 v4, v6, v4, v29
	s_waitcnt vmcnt(18)
	v_lshrrev_b32_e32 v6, 16, v7
	s_waitcnt vmcnt(17)
	v_mul_f16_sdwa v27, v8, v7 dst_sel:DWORD dst_unused:UNUSED_PAD src0_sel:WORD_1 src1_sel:DWORD
	v_pack_b32_f16 v4, v4, v26
	v_mul_f16_sdwa v26, v8, v6 dst_sel:DWORD dst_unused:UNUSED_PAD src0_sel:WORD_1 src1_sel:DWORD
	v_fma_f16 v6, v8, v6, -v27
	global_load_dword v27, v[2:3], off offset:116
	v_fma_f16 v7, v8, v7, v26
	v_pack_b32_f16 v6, v7, v6
	ds_write2_b32 v28, v4, v6 offset1:117
	global_load_dword v4, v[2:3], off offset:584
	s_waitcnt vmcnt(18)
	v_lshrrev_b32_e32 v8, 16, v9
	s_waitcnt vmcnt(17)
	v_mul_f16_sdwa v7, v10, v8 dst_sel:DWORD dst_unused:UNUSED_PAD src0_sel:WORD_1 src1_sel:DWORD
	v_mul_f16_sdwa v26, v10, v9 dst_sel:DWORD dst_unused:UNUSED_PAD src0_sel:WORD_1 src1_sel:DWORD
	v_fma_f16 v6, v10, v9, v7
	global_load_dword v9, v[2:3], off offset:1052
	v_fma_f16 v8, v10, v8, -v26
	s_waitcnt vmcnt(17)
	v_lshrrev_b32_e32 v7, 16, v11
	v_pack_b32_f16 v6, v6, v8
	s_waitcnt vmcnt(16)
	v_mul_f16_sdwa v8, v12, v7 dst_sel:DWORD dst_unused:UNUSED_PAD src0_sel:WORD_1 src1_sel:DWORD
	v_mul_f16_sdwa v10, v12, v11 dst_sel:DWORD dst_unused:UNUSED_PAD src0_sel:WORD_1 src1_sel:DWORD
	v_fma_f16 v8, v12, v11, v8
	v_fma_f16 v7, v12, v7, -v10
	v_pack_b32_f16 v7, v8, v7
	global_load_dword v8, v[0:1], off
	global_load_dword v10, v[2:3], off offset:1520
	v_mad_u64_u32 v[0:1], s[10:11], s8, v5, v[0:1]
	v_add_u32_e32 v1, s6, v1
	global_load_dword v12, v[0:1], off
	global_load_dword v26, v[2:3], off offset:1988
	v_add_u32_e32 v11, 0x200, v28
	v_mad_u64_u32 v[0:1], s[10:11], s8, v5, v[0:1]
	ds_write2_b32 v11, v6, v7 offset0:106 offset1:223
	v_add_u32_e32 v1, s6, v1
	global_load_dword v11, v[0:1], off
	global_load_dword v29, v[2:3], off offset:2456
	v_mad_u64_u32 v[0:1], s[10:11], s8, v5, v[0:1]
	v_add_u32_e32 v1, s6, v1
	s_waitcnt vmcnt(21)
	v_lshrrev_b32_e32 v6, 16, v13
	global_load_dword v33, v[0:1], off
	global_load_dword v34, v[2:3], off offset:2924
	s_waitcnt vmcnt(22)
	v_mul_f16_sdwa v7, v14, v6 dst_sel:DWORD dst_unused:UNUSED_PAD src0_sel:WORD_1 src1_sel:DWORD
	v_fma_f16 v7, v14, v13, v7
	v_mul_f16_sdwa v13, v14, v13 dst_sel:DWORD dst_unused:UNUSED_PAD src0_sel:WORD_1 src1_sel:DWORD
	v_mad_u64_u32 v[0:1], s[8:9], s8, v5, v[0:1]
	v_fma_f16 v6, v14, v6, -v13
	v_add_u32_e32 v1, s6, v1
	v_pack_b32_f16 v6, v7, v6
	global_load_dword v5, v[0:1], off
	global_load_dword v7, v[2:3], off offset:3392
	s_waitcnt vmcnt(19)
	v_lshrrev_b32_e32 v0, 16, v19
	v_mul_f16_sdwa v1, v15, v0 dst_sel:DWORD dst_unused:UNUSED_PAD src0_sel:WORD_1 src1_sel:DWORD
	v_mul_f16_sdwa v2, v15, v19 dst_sel:DWORD dst_unused:UNUSED_PAD src0_sel:WORD_1 src1_sel:DWORD
	v_fma_f16 v1, v15, v19, v1
	v_fma_f16 v0, v15, v0, -v2
	v_pack_b32_f16 v0, v1, v0
	v_add_u32_e32 v1, 0x600, v28
	ds_write2_b32 v1, v6, v0 offset0:84 offset1:201
	s_waitcnt vmcnt(18)
	v_lshrrev_b32_e32 v0, 16, v20
	v_mul_f16_sdwa v1, v16, v0 dst_sel:DWORD dst_unused:UNUSED_PAD src0_sel:WORD_1 src1_sel:DWORD
	v_mul_f16_sdwa v2, v16, v20 dst_sel:DWORD dst_unused:UNUSED_PAD src0_sel:WORD_1 src1_sel:DWORD
	v_fma_f16 v1, v16, v20, v1
	v_fma_f16 v0, v16, v0, -v2
	v_pack_b32_f16 v0, v1, v0
	s_waitcnt vmcnt(17)
	v_lshrrev_b32_e32 v1, 16, v21
	v_mul_f16_sdwa v2, v17, v1 dst_sel:DWORD dst_unused:UNUSED_PAD src0_sel:WORD_1 src1_sel:DWORD
	v_mul_f16_sdwa v3, v17, v21 dst_sel:DWORD dst_unused:UNUSED_PAD src0_sel:WORD_1 src1_sel:DWORD
	v_fma_f16 v2, v17, v21, v2
	v_fma_f16 v1, v17, v1, -v3
	v_pack_b32_f16 v1, v2, v1
	v_add_u32_e32 v2, 0xa00, v28
	ds_write2_b32 v2, v0, v1 offset0:62 offset1:179
	s_waitcnt vmcnt(16)
	v_lshrrev_b32_e32 v0, 16, v22
	v_mul_f16_sdwa v1, v18, v0 dst_sel:DWORD dst_unused:UNUSED_PAD src0_sel:WORD_1 src1_sel:DWORD
	v_mul_f16_sdwa v2, v18, v22 dst_sel:DWORD dst_unused:UNUSED_PAD src0_sel:WORD_1 src1_sel:DWORD
	v_fma_f16 v1, v18, v22, v1
	v_fma_f16 v0, v18, v0, -v2
	v_pack_b32_f16 v0, v1, v0
	s_waitcnt vmcnt(15)
	v_lshrrev_b32_e32 v1, 16, v23
	s_waitcnt vmcnt(12)
	v_mul_f16_sdwa v2, v27, v1 dst_sel:DWORD dst_unused:UNUSED_PAD src0_sel:WORD_1 src1_sel:DWORD
	v_mul_f16_sdwa v3, v27, v23 dst_sel:DWORD dst_unused:UNUSED_PAD src0_sel:WORD_1 src1_sel:DWORD
	v_fma_f16 v2, v27, v23, v2
	v_fma_f16 v1, v27, v1, -v3
	v_pack_b32_f16 v1, v2, v1
	v_add_u32_e32 v2, 0xe00, v28
	ds_write2_b32 v2, v0, v1 offset0:40 offset1:157
	v_lshrrev_b32_e32 v0, 16, v24
	s_waitcnt vmcnt(11)
	v_mul_f16_sdwa v1, v4, v0 dst_sel:DWORD dst_unused:UNUSED_PAD src0_sel:WORD_1 src1_sel:DWORD
	v_mul_f16_sdwa v2, v4, v24 dst_sel:DWORD dst_unused:UNUSED_PAD src0_sel:WORD_1 src1_sel:DWORD
	v_fma_f16 v1, v4, v24, v1
	v_fma_f16 v0, v4, v0, -v2
	v_pack_b32_f16 v0, v1, v0
	v_lshrrev_b32_e32 v1, 16, v25
	s_waitcnt vmcnt(10)
	v_mul_f16_sdwa v2, v9, v1 dst_sel:DWORD dst_unused:UNUSED_PAD src0_sel:WORD_1 src1_sel:DWORD
	v_mul_f16_sdwa v3, v9, v25 dst_sel:DWORD dst_unused:UNUSED_PAD src0_sel:WORD_1 src1_sel:DWORD
	v_fma_f16 v2, v9, v25, v2
	v_fma_f16 v1, v9, v1, -v3
	v_pack_b32_f16 v1, v2, v1
	v_add_u32_e32 v2, 0x1200, v28
	ds_write2_b32 v2, v0, v1 offset0:18 offset1:135
	s_waitcnt vmcnt(9)
	v_lshrrev_b32_e32 v0, 16, v8
	s_waitcnt vmcnt(8)
	v_mul_f16_sdwa v1, v10, v0 dst_sel:DWORD dst_unused:UNUSED_PAD src0_sel:WORD_1 src1_sel:DWORD
	v_mul_f16_sdwa v2, v10, v8 dst_sel:DWORD dst_unused:UNUSED_PAD src0_sel:WORD_1 src1_sel:DWORD
	v_fma_f16 v1, v10, v8, v1
	v_fma_f16 v0, v10, v0, -v2
	v_pack_b32_f16 v0, v1, v0
	s_waitcnt vmcnt(7)
	v_lshrrev_b32_e32 v1, 16, v12
	s_waitcnt vmcnt(6)
	v_mul_f16_sdwa v2, v26, v1 dst_sel:DWORD dst_unused:UNUSED_PAD src0_sel:WORD_1 src1_sel:DWORD
	v_mul_f16_sdwa v3, v26, v12 dst_sel:DWORD dst_unused:UNUSED_PAD src0_sel:WORD_1 src1_sel:DWORD
	v_fma_f16 v2, v26, v12, v2
	v_fma_f16 v1, v26, v1, -v3
	v_pack_b32_f16 v1, v2, v1
	v_add_u32_e32 v2, 0x1400, v28
	ds_write2_b32 v2, v0, v1 offset0:124 offset1:241
	s_waitcnt vmcnt(5)
	v_lshrrev_b32_e32 v0, 16, v11
	s_waitcnt vmcnt(4)
	v_mul_f16_sdwa v1, v29, v0 dst_sel:DWORD dst_unused:UNUSED_PAD src0_sel:WORD_1 src1_sel:DWORD
	v_mul_f16_sdwa v2, v29, v11 dst_sel:DWORD dst_unused:UNUSED_PAD src0_sel:WORD_1 src1_sel:DWORD
	v_fma_f16 v1, v29, v11, v1
	v_fma_f16 v0, v29, v0, -v2
	v_pack_b32_f16 v0, v1, v0
	s_waitcnt vmcnt(3)
	v_lshrrev_b32_e32 v1, 16, v33
	s_waitcnt vmcnt(2)
	v_mul_f16_sdwa v2, v34, v1 dst_sel:DWORD dst_unused:UNUSED_PAD src0_sel:WORD_1 src1_sel:DWORD
	v_mul_f16_sdwa v3, v34, v33 dst_sel:DWORD dst_unused:UNUSED_PAD src0_sel:WORD_1 src1_sel:DWORD
	v_fma_f16 v2, v34, v33, v2
	v_fma_f16 v1, v34, v1, -v3
	v_pack_b32_f16 v1, v2, v1
	v_add_u32_e32 v2, 0x1800, v28
	ds_write2_b32 v2, v0, v1 offset0:102 offset1:219
	s_waitcnt vmcnt(1)
	v_lshrrev_b32_e32 v0, 16, v5
	s_waitcnt vmcnt(0)
	v_mul_f16_sdwa v1, v7, v0 dst_sel:DWORD dst_unused:UNUSED_PAD src0_sel:WORD_1 src1_sel:DWORD
	v_mul_f16_sdwa v2, v7, v5 dst_sel:DWORD dst_unused:UNUSED_PAD src0_sel:WORD_1 src1_sel:DWORD
	v_fma_f16 v1, v7, v5, v1
	v_fma_f16 v0, v7, v0, -v2
	v_pack_b32_f16 v0, v1, v0
	ds_write_b32 v28, v0 offset:7488
.LBB0_3:
	s_or_b64 exec, exec, s[2:3]
	s_load_dwordx2 s[2:3], s[0:1], 0x20
	s_load_dwordx2 s[6:7], s[0:1], 0x8
	v_mov_b32_e32 v0, 0
	s_waitcnt lgkmcnt(0)
	s_barrier
	s_waitcnt lgkmcnt(0)
                                        ; implicit-def: $vgpr41
                                        ; implicit-def: $vgpr26
                                        ; implicit-def: $vgpr15
                                        ; implicit-def: $vgpr27
                                        ; implicit-def: $vgpr38
                                        ; implicit-def: $vgpr13
                                        ; implicit-def: $vgpr39
                                        ; implicit-def: $vgpr40
                                        ; implicit-def: $vgpr11
                                        ; implicit-def: $vgpr33
                                        ; implicit-def: $vgpr21
                                        ; implicit-def: $vgpr9
                                        ; implicit-def: $vgpr22
                                        ; implicit-def: $vgpr23
                                        ; implicit-def: $vgpr7
                                        ; implicit-def: $vgpr24
                                        ; implicit-def: $vgpr25
                                        ; implicit-def: $vgpr5
                                        ; implicit-def: $vgpr16
                                        ; implicit-def: $vgpr17
                                        ; implicit-def: $vgpr3
                                        ; implicit-def: $vgpr18
                                        ; implicit-def: $vgpr19
                                        ; implicit-def: $vgpr20
	s_and_saveexec_b64 s[0:1], s[4:5]
	s_cbranch_execz .LBB0_5
; %bb.4:
	v_add_u32_e32 v2, 0x200, v28
	v_add_u32_e32 v4, 0x600, v28
	;; [unrolled: 1-line block ×7, first 2 shown]
	ds_read2_b32 v[0:1], v28 offset1:117
	ds_read2_b32 v[2:3], v2 offset0:106 offset1:223
	ds_read2_b32 v[4:5], v4 offset0:84 offset1:201
	;; [unrolled: 1-line block ×7, first 2 shown]
	ds_read_b32 v41, v28 offset:7488
	s_waitcnt lgkmcnt(8)
	v_lshrrev_b32_e32 v20, 16, v1
	s_waitcnt lgkmcnt(7)
	v_lshrrev_b32_e32 v19, 16, v2
	v_lshrrev_b32_e32 v18, 16, v3
	s_waitcnt lgkmcnt(6)
	v_lshrrev_b32_e32 v17, 16, v4
	;; [unrolled: 3-line block ×8, first 2 shown]
.LBB0_5:
	s_or_b64 exec, exec, s[0:1]
	v_sub_f16_e32 v80, v20, v26
	v_add_f16_e32 v56, v41, v1
	s_movk_i32 s8, 0x3b76
	v_mul_f16_e32 v42, 0xb5c8, v80
	v_sub_f16_e32 v95, v19, v27
	v_fma_f16 v29, v56, s8, v42
	s_movk_i32 s9, 0x39e9
	v_mul_f16_e32 v44, 0xb964, v80
	v_add_f16_e32 v59, v15, v2
	v_mul_f16_e32 v43, 0xb964, v95
	v_add_f16_e32 v29, v29, v0
	v_fma_f16 v34, v56, s9, v44
	s_movk_i32 s11, 0x2de8
	v_fma_f16 v35, v59, s9, v43
	v_mul_f16_e32 v46, 0xbbf7, v95
	v_sub_f16_e32 v102, v18, v38
	v_add_f16_e32 v34, v34, v0
	s_movk_i32 s10, 0x3722
	v_add_f16_e32 v29, v35, v29
	v_fma_f16 v35, v59, s11, v46
	v_add_f16_e32 v62, v14, v3
	v_mul_f16_e32 v45, 0xbb29, v102
	v_add_f16_e32 v34, v35, v34
	s_mov_b32 s16, 0xb8d2
	v_fma_f16 v35, v62, s10, v45
	v_mul_f16_e32 v48, 0xba62, v102
	v_sub_f16_e32 v109, v17, v39
	v_add_f16_e32 v29, v35, v29
	v_fma_f16 v35, v62, s16, v48
	v_add_f16_e32 v64, v13, v4
	v_mul_f16_e32 v47, 0xbbf7, v109
	s_mov_b32 s17, 0xbbdd
	v_add_f16_e32 v34, v35, v34
	v_fma_f16 v35, v64, s11, v47
	v_mul_f16_e32 v53, 0xb1e1, v109
	v_sub_f16_e32 v113, v16, v40
	s_mov_b32 s18, 0xb461
	v_add_f16_e32 v29, v35, v29
	v_fma_f16 v35, v64, s17, v53
	v_add_f16_e32 v65, v12, v5
	v_mul_f16_e32 v49, 0xbbb2, v113
	v_add_f16_e32 v34, v35, v34
	v_fma_f16 v35, v65, s18, v49
	s_mov_b32 s19, 0xbacd
	v_mul_f16_e32 v55, 0x3836, v113
	v_sub_f16_e32 v126, v25, v33
	v_add_f16_e32 v29, v35, v29
	v_fma_f16 v35, v65, s19, v55
	v_add_f16_e32 v66, v11, v6
	v_mul_f16_e32 v54, 0xba62, v126
	v_add_f16_e32 v34, v35, v34
	v_fma_f16 v35, v66, s16, v54
	v_mul_f16_e32 v58, 0x3bb2, v126
	v_sub_f16_e32 v134, v24, v21
	v_add_f16_e32 v29, v35, v29
	v_fma_f16 v35, v66, s18, v58
	v_add_f16_e32 v67, v10, v7
	v_mul_f16_e32 v57, 0xb836, v134
	v_add_f16_e32 v34, v35, v34
	v_fma_f16 v35, v67, s19, v57
	;; [unrolled: 8-line block ×3, first 2 shown]
	v_mul_f16_e32 v63, 0x35c8, v138
	v_add_f16_e32 v35, v35, v29
	v_fma_f16 v29, v72, s8, v63
	v_mul_f16_e32 v68, 0xbb29, v80
	v_add_f16_e32 v34, v29, v34
	v_fma_f16 v29, v56, s10, v68
	;; [unrolled: 3-line block ×16, first 2 shown]
	v_mul_f16_e32 v94, 0x3964, v138
	v_sub_f16_e32 v131, v1, v41
	v_add_f16_e32 v37, v37, v29
	v_fma_f16 v29, v72, s9, v94
	v_add_f16_e32 v129, v26, v20
	v_mul_f16_e32 v70, 0xb5c8, v131
	v_sub_f16_e32 v132, v2, v15
	v_add_f16_e32 v36, v29, v36
	v_fma_f16 v29, v129, s8, -v70
	v_add_f16_e32 v124, v27, v19
	v_mul_f16_e32 v73, 0xb964, v132
	v_add_f16_sdwa v29, v29, v0 dst_sel:DWORD dst_unused:UNUSED_PAD src0_sel:DWORD src1_sel:WORD_1
	v_fma_f16 v50, v124, s9, -v73
	v_mul_f16_e32 v82, 0xb964, v131
	v_add_f16_e32 v29, v50, v29
	v_fma_f16 v50, v129, s9, -v82
	v_mul_f16_e32 v83, 0xbbf7, v132
	v_add_f16_sdwa v50, v50, v0 dst_sel:DWORD dst_unused:UNUSED_PAD src0_sel:DWORD src1_sel:WORD_1
	v_fma_f16 v51, v124, s11, -v83
	v_mul_f16_e32 v98, 0xbb29, v131
	v_add_f16_e32 v50, v51, v50
	v_fma_f16 v51, v129, s10, -v98
	;; [unrolled: 6-line block ×3, first 2 shown]
	v_mul_f16_e32 v115, 0xb1e1, v132
	v_add_f16_sdwa v52, v52, v0 dst_sel:DWORD dst_unused:UNUSED_PAD src0_sel:DWORD src1_sel:WORD_1
	v_fma_f16 v79, v124, s17, -v115
	v_sub_f16_e32 v136, v3, v14
	v_add_f16_e32 v52, v79, v52
	v_add_f16_e32 v128, v38, v18
	v_mul_f16_e32 v79, 0xbb29, v136
	v_fma_f16 v81, v128, s10, -v79
	v_mul_f16_e32 v92, 0xba62, v136
	v_add_f16_e32 v29, v81, v29
	v_fma_f16 v81, v128, s16, -v92
	v_mul_f16_e32 v103, 0x31e1, v136
	v_add_f16_e32 v50, v81, v50
	v_fma_f16 v81, v128, s17, -v103
	v_mul_f16_e32 v117, 0x3bb2, v136
	v_add_f16_e32 v51, v81, v51
	v_fma_f16 v81, v128, s18, -v117
	v_sub_f16_e32 v137, v4, v13
	v_add_f16_e32 v52, v81, v52
	v_add_f16_e32 v125, v39, v17
	v_mul_f16_e32 v81, 0xbbf7, v137
	v_fma_f16 v90, v125, s11, -v81
	v_mul_f16_e32 v96, 0xb1e1, v137
	v_add_f16_e32 v29, v90, v29
	v_fma_f16 v90, v125, s17, -v96
	v_mul_f16_e32 v105, 0x3bb2, v137
	v_add_f16_e32 v50, v90, v50
	v_fma_f16 v90, v125, s18, -v105
	v_mul_f16_e32 v119, 0x35c8, v137
	v_add_f16_e32 v51, v90, v51
	;; [unrolled: 14-line block ×5, first 2 shown]
	v_fma_f16 v101, v120, s16, -v133
	v_sub_f16_e32 v142, v8, v9
	v_add_f16_e32 v52, v101, v52
	v_add_f16_e32 v122, v22, v23
	v_mul_f16_e32 v101, 0xb1e1, v142
	v_fma_f16 v108, v122, s17, -v101
	v_add_f16_e32 v29, v108, v29
	v_mul_f16_e32 v108, 0x35c8, v142
	v_fma_f16 v111, v122, s8, -v108
	v_mul_f16_e32 v116, 0xb836, v142
	v_add_f16_e32 v50, v111, v50
	v_fma_f16 v111, v122, s19, -v116
	v_mul_f16_e32 v135, 0x3964, v142
	v_add_f16_e32 v51, v111, v51
	v_fma_f16 v111, v122, s9, -v135
	v_add_f16_e32 v52, v111, v52
	s_mov_b32 s20, 0xb5c8
	s_mov_b32 s27, 0xb964
	;; [unrolled: 1-line block ×6, first 2 shown]
	s_movk_i32 s35, 0x31e1
	s_movk_i32 s29, 0x3bb2
	;; [unrolled: 1-line block ×3, first 2 shown]
	s_mov_b32 s26, 0xbbb2
	s_movk_i32 s25, 0x3836
	s_movk_i32 s24, 0x3964
	s_mov_b32 s30, 0xb836
	s_movk_i32 s28, 0x3b29
	s_movk_i32 s33, 0x3a62
	s_barrier
	s_and_saveexec_b64 s[0:1], s[4:5]
	s_cbranch_execz .LBB0_7
; %bb.6:
	v_mul_f16_e32 v143, 0xb461, v129
	v_fma_f16 v111, v131, s29, v143
	v_mul_f16_e32 v144, 0xbacd, v124
	v_add_f16_sdwa v111, v111, v0 dst_sel:DWORD dst_unused:UNUSED_PAD src0_sel:DWORD src1_sel:WORD_1
	v_fma_f16 v118, v132, s30, v144
	v_mul_f16_e32 v145, 0x39e9, v128
	v_add_f16_e32 v111, v118, v111
	v_fma_f16 v118, v136, s27, v145
	v_mul_f16_e32 v146, 0x3722, v125
	v_add_f16_e32 v111, v118, v111
	;; [unrolled: 3-line block ×8, first 2 shown]
	v_fma_f16 v153, v59, s19, v152
	v_add_f16_e32 v118, v153, v118
	v_mul_f16_e32 v153, 0x3964, v102
	v_fma_f16 v154, v62, s9, v153
	v_add_f16_e32 v118, v154, v118
	v_mul_f16_e32 v154, 0xbb29, v109
	;; [unrolled: 3-line block ×7, first 2 shown]
	v_fma_f16 v160, v131, s33, v159
	v_mul_f16_e32 v161, 0xb461, v124
	v_add_f16_sdwa v160, v160, v0 dst_sel:DWORD dst_unused:UNUSED_PAD src0_sel:DWORD src1_sel:WORD_1
	v_fma_f16 v162, v132, s26, v161
	v_add_f16_e32 v160, v162, v160
	v_mul_f16_e32 v162, 0x3b76, v128
	v_fma_f16 v163, v136, s34, v162
	v_add_f16_e32 v160, v163, v160
	v_mul_f16_e32 v163, 0xbacd, v125
	;; [unrolled: 3-line block ×7, first 2 shown]
	v_fma_f16 v169, v56, s16, v168
	v_mul_f16_e32 v170, 0x3bb2, v95
	v_add_f16_e32 v169, v169, v0
	v_fma_f16 v171, v59, s18, v170
	v_add_f16_e32 v169, v171, v169
	v_mul_f16_e32 v171, 0xb5c8, v102
	v_fma_f16 v172, v62, s8, v171
	v_add_f16_e32 v169, v172, v169
	v_mul_f16_e32 v172, 0xb836, v109
	;; [unrolled: 3-line block ×7, first 2 shown]
	v_fma_f16 v178, v131, s25, v177
	v_mul_f16_e32 v179, 0x3722, v124
	v_add_f16_sdwa v178, v178, v0 dst_sel:DWORD dst_unused:UNUSED_PAD src0_sel:DWORD src1_sel:WORD_1
	v_fma_f16 v180, v132, s23, v179
	v_add_f16_e32 v178, v180, v178
	s_movk_i32 s36, 0x3bf7
	v_mul_f16_e32 v180, 0x2de8, v128
	v_fma_f16 v181, v136, s36, v180
	v_add_f16_e32 v178, v181, v178
	v_mul_f16_e32 v181, 0xb8d2, v125
	v_fma_f16 v182, v137, s21, v181
	v_add_f16_e32 v178, v182, v178
	;; [unrolled: 3-line block ×6, first 2 shown]
	v_mul_f16_e32 v186, 0xb836, v80
	v_fma_f16 v187, v56, s19, v186
	v_mul_f16_e32 v188, 0x3b29, v95
	v_add_f16_e32 v187, v187, v0
	v_fma_f16 v189, v59, s10, v188
	v_add_f16_e32 v187, v189, v187
	v_mul_f16_e32 v189, 0xbbf7, v102
	v_fma_f16 v190, v62, s11, v189
	v_add_f16_e32 v187, v190, v187
	v_mul_f16_e32 v190, 0x3a62, v109
	v_fma_f16 v191, v64, s16, v190
	v_add_f16_e32 v187, v191, v187
	v_mul_f16_e32 v191, 0xb5c8, v113
	v_fma_f16 v192, v65, s8, v191
	v_add_f16_e32 v187, v192, v187
	v_mul_f16_e32 v192, 0xb1e1, v126
	v_fma_f16 v193, v66, s17, v192
	v_add_f16_e32 v187, v193, v187
	v_mul_f16_e32 v193, 0x3964, v134
	v_fma_f16 v194, v67, s9, v193
	v_add_f16_e32 v187, v194, v187
	v_mul_f16_e32 v194, 0xbbb2, v138
	v_fma_f16 v195, v72, s18, v194
	v_add_f16_e32 v187, v195, v187
	v_mul_f16_e32 v195, 0xbbdd, v129
	v_fma_f16 v196, v131, s35, v195
	v_mul_f16_e32 v197, 0x3b76, v124
	v_add_f16_sdwa v196, v196, v0 dst_sel:DWORD dst_unused:UNUSED_PAD src0_sel:DWORD src1_sel:WORD_1
	v_fma_f16 v198, v132, s20, v197
	v_add_f16_e32 v196, v198, v196
	v_mul_f16_e32 v198, 0xbacd, v128
	v_fma_f16 v199, v136, s25, v198
	v_add_f16_e32 v196, v199, v196
	v_mul_f16_e32 v199, 0x39e9, v125
	;; [unrolled: 3-line block ×6, first 2 shown]
	v_fma_f16 v204, v142, s31, v203
	v_mul_f16_e32 v80, 0xb1e1, v80
	v_add_f16_e32 v196, v204, v196
	v_fma_f16 v204, v56, s17, v80
	v_mul_f16_e32 v95, 0x35c8, v95
	v_fma_f16 v80, v56, s17, -v80
	v_fma_f16 v205, v59, s8, v95
	v_mul_f16_e32 v102, 0xb836, v102
	v_add_f16_e32 v80, v80, v0
	v_fma_f16 v95, v59, s8, -v95
	v_mul_f16_e32 v109, 0x3964, v109
	v_add_f16_e32 v80, v95, v80
	v_fma_f16 v95, v62, s19, -v102
	;; [unrolled: 3-line block ×6, first 2 shown]
	v_add_f16_e32 v80, v95, v80
	v_fma_f16 v95, v72, s11, -v138
	v_add_f16_e32 v204, v204, v0
	v_add_f16_e32 v80, v95, v80
	v_fma_f16 v95, v131, s30, v177
	v_add_f16_e32 v204, v205, v204
	v_fma_f16 v205, v62, s19, v102
	v_add_f16_sdwa v95, v95, v0 dst_sel:DWORD dst_unused:UNUSED_PAD src0_sel:DWORD src1_sel:WORD_1
	v_fma_f16 v102, v132, s28, v179
	v_add_f16_e32 v95, v102, v95
	v_fma_f16 v102, v136, s31, v180
	v_add_f16_e32 v95, v102, v95
	;; [unrolled: 2-line block ×7, first 2 shown]
	v_fma_f16 v102, v56, s19, -v186
	v_add_f16_e32 v204, v205, v204
	v_fma_f16 v205, v64, s9, v109
	v_add_f16_e32 v102, v102, v0
	v_fma_f16 v109, v59, s10, -v188
	v_add_f16_e32 v102, v109, v102
	v_fma_f16 v109, v62, s11, -v189
	;; [unrolled: 2-line block ×7, first 2 shown]
	v_add_f16_e32 v102, v109, v102
	v_fma_f16 v109, v131, s21, v159
	v_add_f16_e32 v204, v205, v204
	v_fma_f16 v205, v65, s16, v113
	v_add_f16_sdwa v109, v109, v0 dst_sel:DWORD dst_unused:UNUSED_PAD src0_sel:DWORD src1_sel:WORD_1
	v_fma_f16 v113, v132, s29, v161
	v_add_f16_e32 v109, v113, v109
	v_fma_f16 v113, v136, s20, v162
	v_add_f16_e32 v109, v113, v109
	;; [unrolled: 2-line block ×7, first 2 shown]
	v_fma_f16 v113, v56, s16, -v168
	v_add_f16_e32 v204, v205, v204
	v_fma_f16 v205, v66, s10, v126
	v_add_f16_e32 v113, v113, v0
	v_fma_f16 v126, v59, s18, -v170
	v_add_f16_e32 v113, v126, v113
	v_fma_f16 v126, v62, s8, -v171
	v_fma_f16 v195, v131, s22, v195
	v_add_f16_e32 v113, v126, v113
	v_fma_f16 v126, v64, s19, -v172
	v_fma_f16 v131, v131, s26, v143
	v_add_f16_sdwa v195, v195, v0 dst_sel:DWORD dst_unused:UNUSED_PAD src0_sel:DWORD src1_sel:WORD_1
	v_fma_f16 v197, v132, s34, v197
	v_add_f16_e32 v113, v126, v113
	v_fma_f16 v126, v65, s11, -v173
	v_fma_f16 v132, v132, s25, v144
	v_add_f16_sdwa v131, v131, v0 dst_sel:DWORD dst_unused:UNUSED_PAD src0_sel:DWORD src1_sel:WORD_1
	v_add_f16_e32 v195, v197, v195
	v_fma_f16 v197, v136, s30, v198
	v_add_f16_e32 v113, v126, v113
	v_fma_f16 v126, v66, s9, -v174
	v_add_f16_e32 v131, v132, v131
	v_fma_f16 v136, v136, s24, v145
	v_add_f16_e32 v204, v205, v204
	v_fma_f16 v205, v67, s18, v134
	v_add_f16_e32 v195, v197, v195
	v_fma_f16 v197, v137, s24, v199
	v_add_f16_e32 v113, v126, v113
	v_fma_f16 v134, v67, s17, -v175
	v_add_f16_e32 v131, v136, v131
	v_fma_f16 v137, v137, s23, v146
	v_add_f16_e32 v204, v205, v204
	v_fma_f16 v205, v72, s11, v138
	;; [unrolled: 8-line block ×3, first 2 shown]
	v_mul_f16_e32 v126, 0x3b76, v56
	v_add_f16_e32 v113, v138, v113
	v_mul_f16_e32 v138, 0x39e9, v56
	v_mul_f16_e32 v144, 0x3722, v56
	;; [unrolled: 1-line block ×3, first 2 shown]
	v_add_f16_e32 v131, v139, v131
	v_fma_f16 v140, v140, s36, v148
	v_fma_f16 v56, v56, s18, -v151
	v_add_f16_e32 v195, v197, v195
	v_fma_f16 v197, v141, s26, v202
	v_mul_f16_e32 v136, 0x39e9, v59
	v_mul_f16_e32 v137, 0x2de8, v59
	;; [unrolled: 1-line block ×3, first 2 shown]
	v_add_f16_e32 v131, v140, v131
	v_mul_f16_e32 v140, 0xbbdd, v59
	v_fma_f16 v59, v59, s19, -v152
	v_add_f16_e32 v56, v56, v0
	v_add_f16_e32 v195, v197, v195
	v_fma_f16 v197, v142, s36, v203
	v_fma_f16 v141, v141, s20, v149
	v_mul_f16_e32 v149, 0x3722, v62
	v_fma_f16 v142, v142, s21, v150
	v_mul_f16_e32 v150, 0xb8d2, v62
	v_mul_f16_e32 v151, 0xbbdd, v62
	v_add_f16_e32 v56, v59, v56
	v_mul_f16_e32 v59, 0xb461, v62
	v_fma_f16 v62, v62, s9, -v153
	v_add_f16_e32 v56, v62, v56
	v_fma_f16 v154, v64, s10, -v154
	v_mul_f16_e32 v134, 0x3b76, v129
	v_mul_f16_e32 v143, 0x39e9, v129
	;; [unrolled: 1-line block ×4, first 2 shown]
	v_add_f16_e32 v56, v154, v56
	v_fma_f16 v155, v65, s17, -v155
	v_mul_f16_e32 v146, 0x39e9, v124
	v_mul_f16_e32 v147, 0x2de8, v124
	;; [unrolled: 1-line block ×4, first 2 shown]
	v_add_f16_e32 v131, v141, v131
	v_add_f16_e32 v56, v155, v56
	v_fma_f16 v156, v66, s11, -v156
	v_add_f16_e32 v114, v114, v129
	v_mul_f16_e32 v141, 0x3722, v128
	v_add_f16_e32 v131, v142, v131
	v_mul_f16_e32 v142, 0xb8d2, v128
	v_mul_f16_e32 v152, 0xbbdd, v128
	;; [unrolled: 1-line block ×3, first 2 shown]
	v_add_f16_e32 v56, v156, v56
	v_fma_f16 v157, v67, s8, -v157
	v_add_f16_e32 v115, v115, v124
	v_add_f16_sdwa v114, v114, v0 dst_sel:DWORD dst_unused:UNUSED_PAD src0_sel:DWORD src1_sel:WORD_1
	v_mul_f16_e32 v62, 0x2de8, v125
	v_mul_f16_e32 v155, 0xbbdd, v125
	v_add_f16_e32 v56, v157, v56
	v_mul_f16_e32 v157, 0xb461, v125
	v_mul_f16_e32 v125, 0x3b76, v125
	v_add_f16_e32 v114, v115, v114
	v_add_f16_e32 v117, v117, v128
	v_mul_f16_e32 v129, 0xb461, v123
	v_mul_f16_e32 v115, 0xbacd, v123
	v_add_f16_e32 v114, v117, v114
	v_mul_f16_e32 v117, 0x39e9, v123
	v_mul_f16_e32 v123, 0x3722, v123
	v_add_f16_e32 v119, v119, v125
	v_add_f16_e32 v114, v119, v114
	;; [unrolled: 1-line block ×4, first 2 shown]
	v_mul_f16_e32 v123, 0xbacd, v121
	v_sub_f16_e32 v85, v145, v85
	v_add_f16_e32 v123, v130, v123
	v_sub_f16_e32 v86, v140, v86
	v_add_f16_e32 v85, v85, v0
	v_mul_f16_e32 v153, 0x2de8, v64
	v_mul_f16_e32 v154, 0xbbdd, v64
	;; [unrolled: 1-line block ×4, first 2 shown]
	v_fma_f16 v158, v72, s16, -v158
	v_add_f16_e32 v114, v123, v114
	v_mul_f16_e32 v123, 0xb8d2, v120
	v_add_f16_e32 v85, v86, v85
	v_sub_f16_e32 v59, v59, v84
	v_add_f16_e32 v56, v158, v56
	v_mul_f16_e32 v158, 0xb461, v65
	v_mul_f16_e32 v124, 0xbacd, v65
	;; [unrolled: 1-line block ×4, first 2 shown]
	v_add_f16_e32 v123, v133, v123
	v_add_f16_e32 v59, v59, v85
	v_sub_f16_e32 v64, v64, v87
	v_mul_f16_e32 v125, 0xb8d2, v66
	v_mul_f16_e32 v127, 0xb461, v66
	;; [unrolled: 1-line block ×4, first 2 shown]
	v_add_f16_e32 v114, v123, v114
	v_mul_f16_e32 v123, 0x39e9, v122
	v_add_f16_e32 v59, v64, v59
	v_sub_f16_e32 v65, v65, v88
	v_add_f16_e32 v123, v135, v123
	v_mul_f16_e32 v135, 0xbacd, v67
	v_mul_f16_e32 v145, 0x3722, v67
	;; [unrolled: 1-line block ×4, first 2 shown]
	v_add_f16_e32 v59, v65, v59
	v_sub_f16_e32 v65, v66, v89
	v_mul_f16_e32 v84, 0xbbdd, v72
	v_mul_f16_e32 v87, 0x3b76, v72
	;; [unrolled: 1-line block ×4, first 2 shown]
	v_add_f16_e32 v59, v65, v59
	v_sub_f16_e32 v65, v67, v91
	v_add_f16_e32 v59, v65, v59
	v_sub_f16_e32 v65, v72, v94
	v_add_f16_e32 v59, v65, v59
	v_add_f16_e32 v65, v98, v132
	v_add_f16_sdwa v65, v65, v0 dst_sel:DWORD dst_unused:UNUSED_PAD src0_sel:DWORD src1_sel:WORD_1
	v_add_f16_e32 v66, v99, v148
	v_add_f16_e32 v65, v66, v65
	;; [unrolled: 1-line block ×5, first 2 shown]
	v_mul_f16_e32 v119, 0xb8d2, v121
	v_mul_f16_e32 v130, 0xb461, v121
	;; [unrolled: 1-line block ×3, first 2 shown]
	v_add_f16_e32 v65, v66, v65
	v_add_f16_e32 v66, v107, v117
	;; [unrolled: 1-line block ×3, first 2 shown]
	v_mul_f16_e32 v123, 0xbacd, v120
	v_mul_f16_e32 v140, 0x3722, v120
	;; [unrolled: 1-line block ×3, first 2 shown]
	v_add_f16_e32 v65, v66, v65
	v_add_f16_e32 v66, v110, v121
	v_mul_f16_e32 v85, 0xbbdd, v122
	v_mul_f16_e32 v64, 0x3b76, v122
	;; [unrolled: 1-line block ×3, first 2 shown]
	v_add_f16_e32 v65, v66, v65
	v_add_f16_e32 v66, v112, v120
	;; [unrolled: 1-line block ×5, first 2 shown]
	v_sub_f16_e32 v66, v144, v68
	v_sub_f16_e32 v44, v138, v44
	v_add_f16_e32 v66, v66, v0
	v_sub_f16_e32 v67, v139, v69
	v_add_f16_e32 v44, v44, v0
	;; [unrolled: 2-line block ×15, first 2 shown]
	v_add_f16_e32 v67, v82, v143
	v_add_f16_e32 v44, v46, v44
	;; [unrolled: 1-line block ×3, first 2 shown]
	v_sub_f16_e32 v42, v126, v42
	v_add_f16_sdwa v67, v67, v0 dst_sel:DWORD dst_unused:UNUSED_PAD src0_sel:DWORD src1_sel:WORD_1
	v_add_f16_sdwa v46, v46, v0 dst_sel:DWORD dst_unused:UNUSED_PAD src0_sel:DWORD src1_sel:WORD_1
	v_add_f16_e32 v42, v42, v0
	v_add_f16_e32 v1, v1, v0
	v_add_f16_sdwa v0, v20, v0 dst_sel:DWORD dst_unused:UNUSED_PAD src0_sel:DWORD src1_sel:WORD_1
	v_add_f16_e32 v1, v2, v1
	v_add_f16_e32 v0, v19, v0
	;; [unrolled: 1-line block ×15, first 2 shown]
	v_sub_f16_e32 v43, v136, v43
	v_add_f16_e32 v1, v9, v1
	v_add_f16_e32 v0, v22, v0
	v_add_f16_e32 v68, v83, v147
	v_add_f16_e32 v46, v48, v46
	v_add_f16_e32 v48, v79, v141
	v_add_f16_e32 v42, v43, v42
	v_sub_f16_e32 v43, v149, v45
	v_add_f16_e32 v1, v10, v1
	v_add_f16_e32 v0, v21, v0
	v_add_f16_e32 v67, v68, v67
	v_add_f16_e32 v68, v92, v142
	v_add_f16_e32 v46, v48, v46
	v_add_f16_e32 v48, v81, v62
	v_add_f16_e32 v42, v43, v42
	v_sub_f16_e32 v43, v153, v47
	v_add_f16_e32 v1, v11, v1
	;; [unrolled: 8-line block ×6, first 2 shown]
	v_add_f16_e32 v0, v27, v0
	v_add_f16_e32 v67, v68, v67
	;; [unrolled: 1-line block ×7, first 2 shown]
	v_mul_lo_u16_e32 v2, 17, v30
	v_add_f16_e32 v64, v64, v67
	v_lshlrev_b32_e32 v2, 2, v2
	v_pack_b32_f16 v3, v42, v46
	v_pack_b32_f16 v0, v1, v0
	ds_write2_b32 v2, v0, v3 offset1:1
	v_pack_b32_f16 v0, v66, v65
	v_pack_b32_f16 v1, v44, v64
	ds_write2_b32 v2, v1, v0 offset0:2 offset1:3
	v_pack_b32_f16 v0, v59, v114
	v_pack_b32_f16 v1, v56, v131
	v_add_f16_e32 v204, v205, v204
	v_add_f16_e32 v195, v197, v195
	ds_write2_b32 v2, v0, v1 offset0:4 offset1:5
	v_pack_b32_f16 v0, v102, v95
	v_pack_b32_f16 v1, v113, v109
	ds_write2_b32 v2, v1, v0 offset0:6 offset1:7
	v_pack_b32_f16 v0, v204, v196
	v_pack_b32_f16 v1, v80, v195
	;; [unrolled: 3-line block ×3, first 2 shown]
	s_mov_b32 s8, 0x5040100
	ds_write2_b32 v2, v1, v0 offset0:10 offset1:11
	v_pack_b32_f16 v0, v118, v111
	v_perm_b32 v1, v52, v36, s8
	ds_write2_b32 v2, v0, v1 offset0:12 offset1:13
	v_perm_b32 v0, v50, v34, s8
	v_perm_b32 v1, v51, v37, s8
	ds_write2_b32 v2, v1, v0 offset0:14 offset1:15
	v_perm_b32 v0, v29, v35, s8
	ds_write_b32 v2, v0 offset:64
.LBB0_7:
	s_or_b64 exec, exec, s[0:1]
	s_movk_i32 s0, 0xf1
	v_mul_lo_u16_sdwa v0, v30, s0 dst_sel:DWORD dst_unused:UNUSED_PAD src0_sel:BYTE_0 src1_sel:DWORD
	v_lshrrev_b16_e32 v1, 12, v0
	v_mul_lo_u16_e32 v0, 17, v1
	v_sub_u16_e32 v0, v30, v0
	v_and_b32_e32 v2, 0xff, v0
	v_mul_u32_u24_e32 v0, 12, v2
	v_lshlrev_b32_e32 v0, 2, v0
	s_load_dwordx4 s[8:11], s[2:3], 0x0
	s_waitcnt lgkmcnt(0)
	s_barrier
	global_load_dwordx4 v[8:11], v0, s[6:7]
	global_load_dwordx4 v[12:15], v0, s[6:7] offset:16
	global_load_dwordx4 v[16:19], v0, s[6:7] offset:32
	ds_read2_b32 v[4:5], v28 offset1:153
	v_add_u32_e32 v3, 0x400, v28
	v_add_u32_e32 v20, 0x800, v28
	;; [unrolled: 1-line block ×5, first 2 shown]
	ds_read_b32 v33, v28 offset:7344
	ds_read2_b32 v[6:7], v3 offset0:50 offset1:203
	ds_read2_b32 v[20:21], v20 offset0:100 offset1:253
	ds_read2_b32 v[22:23], v22 offset0:22 offset1:175
	ds_read2_b32 v[24:25], v24 offset0:72 offset1:225
	ds_read2_b32 v[26:27], v0 offset0:58 offset1:211
	s_waitcnt lgkmcnt(6)
	v_lshrrev_b32_e32 v3, 16, v5
	s_waitcnt lgkmcnt(4)
	v_lshrrev_b32_e32 v39, 16, v6
	v_lshrrev_b32_e32 v40, 16, v7
	s_waitcnt lgkmcnt(3)
	v_lshrrev_b32_e32 v41, 16, v20
	;; [unrolled: 3-line block ×5, first 2 shown]
	v_lshrrev_b32_e32 v38, 16, v33
	v_lshrrev_b32_e32 v48, 16, v27
	s_movk_i32 s2, 0x3b15
	s_movk_i32 s1, 0x388b
	;; [unrolled: 1-line block ×3, first 2 shown]
	s_mov_b32 s3, 0xb5ac
	s_mov_b32 s16, 0xb9fd
	;; [unrolled: 1-line block ×3, first 2 shown]
	v_mul_u32_u24_e32 v1, 0xdd, v1
	s_barrier
	v_add_u32_e32 v76, 0x1480, v28
	s_waitcnt vmcnt(2)
	v_mul_f16_sdwa v53, v5, v8 dst_sel:DWORD dst_unused:UNUSED_PAD src0_sel:DWORD src1_sel:WORD_1
	v_mul_f16_sdwa v49, v3, v8 dst_sel:DWORD dst_unused:UNUSED_PAD src0_sel:DWORD src1_sel:WORD_1
	;; [unrolled: 1-line block ×3, first 2 shown]
	v_fma_f16 v3, v3, v8, v53
	v_mul_f16_sdwa v54, v39, v9 dst_sel:DWORD dst_unused:UNUSED_PAD src0_sel:DWORD src1_sel:WORD_1
	v_mul_f16_sdwa v57, v7, v10 dst_sel:DWORD dst_unused:UNUSED_PAD src0_sel:DWORD src1_sel:WORD_1
	v_fma_f16 v5, v5, v8, -v49
	v_fma_f16 v39, v39, v9, v55
	v_add_f16_sdwa v53, v4, v3 dst_sel:DWORD dst_unused:UNUSED_PAD src0_sel:WORD_1 src1_sel:DWORD
	v_mul_f16_sdwa v56, v40, v10 dst_sel:DWORD dst_unused:UNUSED_PAD src0_sel:DWORD src1_sel:WORD_1
	v_mul_f16_sdwa v59, v20, v11 dst_sel:DWORD dst_unused:UNUSED_PAD src0_sel:DWORD src1_sel:WORD_1
	v_fma_f16 v6, v6, v9, -v54
	v_fma_f16 v40, v40, v10, v57
	v_add_f16_e32 v49, v4, v5
	v_add_f16_e32 v53, v53, v39
	v_mul_f16_sdwa v58, v41, v11 dst_sel:DWORD dst_unused:UNUSED_PAD src0_sel:DWORD src1_sel:WORD_1
	s_waitcnt vmcnt(1)
	v_mul_f16_sdwa v61, v21, v12 dst_sel:DWORD dst_unused:UNUSED_PAD src0_sel:DWORD src1_sel:WORD_1
	v_fma_f16 v7, v7, v10, -v56
	v_fma_f16 v41, v41, v11, v59
	v_add_f16_e32 v49, v49, v6
	v_add_f16_e32 v53, v53, v40
	v_mul_f16_sdwa v60, v42, v12 dst_sel:DWORD dst_unused:UNUSED_PAD src0_sel:DWORD src1_sel:WORD_1
	v_mul_f16_sdwa v63, v22, v13 dst_sel:DWORD dst_unused:UNUSED_PAD src0_sel:DWORD src1_sel:WORD_1
	v_fma_f16 v20, v20, v11, -v58
	v_fma_f16 v42, v42, v12, v61
	v_add_f16_e32 v49, v49, v7
	v_add_f16_e32 v53, v53, v41
	v_mul_f16_sdwa v62, v43, v13 dst_sel:DWORD dst_unused:UNUSED_PAD src0_sel:DWORD src1_sel:WORD_1
	;; [unrolled: 6-line block ×4, first 2 shown]
	s_waitcnt vmcnt(0)
	v_mul_f16_sdwa v69, v25, v16 dst_sel:DWORD dst_unused:UNUSED_PAD src0_sel:DWORD src1_sel:WORD_1
	v_fma_f16 v23, v23, v14, -v64
	v_fma_f16 v45, v45, v15, v67
	v_add_f16_e32 v49, v49, v22
	v_add_f16_e32 v53, v53, v44
	v_mul_f16_sdwa v68, v46, v16 dst_sel:DWORD dst_unused:UNUSED_PAD src0_sel:DWORD src1_sel:WORD_1
	v_mul_f16_sdwa v71, v26, v17 dst_sel:DWORD dst_unused:UNUSED_PAD src0_sel:DWORD src1_sel:WORD_1
	v_fma_f16 v24, v24, v15, -v66
	v_fma_f16 v46, v46, v16, v69
	v_add_f16_e32 v49, v49, v23
	v_add_f16_e32 v53, v53, v45
	v_mul_f16_sdwa v70, v47, v17 dst_sel:DWORD dst_unused:UNUSED_PAD src0_sel:DWORD src1_sel:WORD_1
	;; [unrolled: 6-line block ×3, first 2 shown]
	v_mul_f16_sdwa v74, v38, v19 dst_sel:DWORD dst_unused:UNUSED_PAD src0_sel:DWORD src1_sel:WORD_1
	v_mul_f16_sdwa v75, v33, v19 dst_sel:DWORD dst_unused:UNUSED_PAD src0_sel:DWORD src1_sel:WORD_1
	v_fma_f16 v26, v26, v17, -v70
	v_fma_f16 v48, v48, v18, v73
	v_add_f16_e32 v49, v49, v25
	v_add_f16_e32 v53, v53, v47
	v_fma_f16 v27, v27, v18, -v72
	v_fma_f16 v33, v33, v19, -v74
	v_fma_f16 v38, v38, v19, v75
	v_add_f16_e32 v49, v49, v26
	v_add_f16_e32 v53, v53, v48
	;; [unrolled: 1-line block ×6, first 2 shown]
	v_sub_f16_e32 v5, v5, v33
	v_sub_f16_e32 v3, v3, v38
	v_add_f16_e32 v49, v49, v33
	v_mul_f16_e32 v33, 0xb770, v3
	v_mul_f16_e32 v55, 0xb770, v5
	;; [unrolled: 1-line block ×12, first 2 shown]
	v_fma_f16 v38, v53, s2, -v33
	v_fma_f16 v57, v54, s2, v55
	v_fma_f16 v33, v53, s2, v33
	v_fma_f16 v55, v54, s2, -v55
	v_fma_f16 v59, v53, s1, -v58
	v_fma_f16 v61, v54, s1, v60
	v_fma_f16 v58, v53, s1, v58
	v_fma_f16 v60, v54, s1, -v60
	;; [unrolled: 4-line block ×6, first 2 shown]
	v_add_f16_e32 v38, v4, v38
	v_add_f16_sdwa v57, v4, v57 dst_sel:DWORD dst_unused:UNUSED_PAD src0_sel:WORD_1 src1_sel:DWORD
	v_add_f16_e32 v33, v4, v33
	v_add_f16_sdwa v55, v4, v55 dst_sel:DWORD dst_unused:UNUSED_PAD src0_sel:WORD_1 src1_sel:DWORD
	v_add_f16_e32 v59, v4, v59
	v_add_f16_sdwa v61, v4, v61 dst_sel:DWORD dst_unused:UNUSED_PAD src0_sel:WORD_1 src1_sel:DWORD
	v_add_f16_e32 v58, v4, v58
	v_add_f16_sdwa v60, v4, v60 dst_sel:DWORD dst_unused:UNUSED_PAD src0_sel:WORD_1 src1_sel:DWORD
	v_add_f16_e32 v63, v4, v63
	v_add_f16_sdwa v65, v4, v65 dst_sel:DWORD dst_unused:UNUSED_PAD src0_sel:WORD_1 src1_sel:DWORD
	v_add_f16_e32 v62, v4, v62
	v_add_f16_sdwa v64, v4, v64 dst_sel:DWORD dst_unused:UNUSED_PAD src0_sel:WORD_1 src1_sel:DWORD
	v_add_f16_e32 v67, v4, v67
	v_add_f16_sdwa v69, v4, v69 dst_sel:DWORD dst_unused:UNUSED_PAD src0_sel:WORD_1 src1_sel:DWORD
	v_add_f16_e32 v66, v4, v66
	v_add_f16_sdwa v68, v4, v68 dst_sel:DWORD dst_unused:UNUSED_PAD src0_sel:WORD_1 src1_sel:DWORD
	v_add_f16_e32 v71, v4, v71
	v_add_f16_sdwa v73, v4, v73 dst_sel:DWORD dst_unused:UNUSED_PAD src0_sel:WORD_1 src1_sel:DWORD
	v_add_f16_e32 v70, v4, v70
	v_add_f16_sdwa v72, v4, v72 dst_sel:DWORD dst_unused:UNUSED_PAD src0_sel:WORD_1 src1_sel:DWORD
	v_add_f16_e32 v74, v4, v74
	v_add_f16_sdwa v75, v4, v75 dst_sel:DWORD dst_unused:UNUSED_PAD src0_sel:WORD_1 src1_sel:DWORD
	v_add_f16_e32 v3, v4, v3
	v_add_f16_sdwa v4, v4, v5 dst_sel:DWORD dst_unused:UNUSED_PAD src0_sel:WORD_1 src1_sel:DWORD
	v_add_f16_e32 v5, v6, v27
	v_sub_f16_e32 v6, v6, v27
	v_sub_f16_e32 v27, v39, v48
	v_add_f16_e32 v53, v39, v48
	v_mul_f16_e32 v39, 0xba95, v27
	v_fma_f16 v48, v5, s1, -v39
	v_add_f16_e32 v38, v48, v38
	v_mul_f16_e32 v48, 0xba95, v6
	v_fma_f16 v39, v5, s1, v39
	v_fma_f16 v54, v53, s1, v48
	v_add_f16_e32 v33, v39, v33
	v_fma_f16 v39, v53, s1, -v48
	v_mul_f16_e32 v48, 0xbb7b, v27
	v_add_f16_e32 v54, v54, v57
	v_add_f16_e32 v39, v39, v55
	v_fma_f16 v55, v5, s3, -v48
	v_mul_f16_e32 v57, 0xbb7b, v6
	v_fma_f16 v48, v5, s3, v48
	v_add_f16_e32 v55, v55, v59
	v_fma_f16 v59, v53, s3, v57
	v_add_f16_e32 v48, v48, v58
	v_fma_f16 v57, v53, s3, -v57
	v_mul_f16_e32 v58, 0xb3a8, v27
	v_add_f16_e32 v59, v59, v61
	v_add_f16_e32 v57, v57, v60
	v_fma_f16 v60, v5, s17, -v58
	v_mul_f16_e32 v61, 0xb3a8, v6
	v_fma_f16 v58, v5, s17, v58
	v_add_f16_e32 v60, v60, v63
	;; [unrolled: 10-line block ×3, first 2 shown]
	v_fma_f16 v67, v53, s16, v65
	v_add_f16_e32 v62, v62, v66
	v_fma_f16 v65, v53, s16, -v65
	v_mul_f16_e32 v66, 0x3bf1, v27
	v_add_f16_e32 v65, v65, v68
	v_fma_f16 v68, v5, s0, -v66
	v_fma_f16 v66, v5, s0, v66
	v_mul_f16_e32 v27, 0x3770, v27
	v_add_f16_e32 v67, v67, v69
	v_mul_f16_e32 v69, 0x3bf1, v6
	v_add_f16_e32 v66, v66, v70
	v_fma_f16 v70, v5, s2, -v27
	v_mul_f16_e32 v6, 0x3770, v6
	v_fma_f16 v5, v5, s2, v27
	v_add_f16_e32 v3, v5, v3
	v_fma_f16 v5, v53, s2, -v6
	v_add_f16_e32 v4, v5, v4
	v_add_f16_e32 v5, v7, v26
	v_sub_f16_e32 v7, v7, v26
	v_sub_f16_e32 v26, v40, v47
	v_add_f16_e32 v68, v68, v71
	v_fma_f16 v71, v53, s0, v69
	v_fma_f16 v69, v53, s0, -v69
	v_mul_f16_e32 v27, 0xbbf1, v26
	v_add_f16_e32 v69, v69, v72
	v_fma_f16 v72, v53, s2, v6
	v_add_f16_e32 v6, v40, v47
	v_fma_f16 v40, v5, s0, -v27
	v_add_f16_e32 v38, v40, v38
	v_mul_f16_e32 v40, 0xbbf1, v7
	v_fma_f16 v27, v5, s0, v27
	v_add_f16_e32 v27, v27, v33
	v_fma_f16 v33, v6, s0, -v40
	v_add_f16_e32 v33, v33, v39
	v_mul_f16_e32 v39, 0xb3a8, v26
	v_fma_f16 v47, v6, s0, v40
	v_fma_f16 v40, v5, s17, -v39
	v_mul_f16_e32 v53, 0xb3a8, v7
	v_fma_f16 v39, v5, s17, v39
	v_add_f16_e32 v47, v47, v54
	v_fma_f16 v54, v6, s17, v53
	v_add_f16_e32 v39, v39, v48
	v_fma_f16 v48, v6, s17, -v53
	v_mul_f16_e32 v53, 0x3b7b, v26
	v_add_f16_e32 v40, v40, v55
	v_fma_f16 v55, v5, s3, -v53
	v_fma_f16 v53, v5, s3, v53
	v_add_f16_e32 v48, v48, v57
	v_mul_f16_e32 v57, 0x3b7b, v7
	v_add_f16_e32 v53, v53, v58
	v_mul_f16_e32 v58, 0x3770, v26
	v_add_f16_e32 v54, v54, v59
	v_add_f16_e32 v55, v55, v60
	v_fma_f16 v59, v6, s3, v57
	v_fma_f16 v57, v6, s3, -v57
	v_fma_f16 v60, v5, s2, -v58
	v_fma_f16 v58, v5, s2, v58
	v_add_f16_e32 v57, v57, v61
	v_mul_f16_e32 v61, 0x3770, v7
	v_add_f16_e32 v58, v58, v62
	v_mul_f16_e32 v62, 0xba95, v26
	v_add_f16_e32 v59, v59, v63
	v_add_f16_e32 v60, v60, v64
	v_fma_f16 v63, v6, s2, v61
	v_fma_f16 v61, v6, s2, -v61
	v_fma_f16 v64, v5, s1, -v62
	v_fma_f16 v62, v5, s1, v62
	v_mul_f16_e32 v26, 0xb94e, v26
	v_add_f16_e32 v61, v61, v65
	v_mul_f16_e32 v65, 0xba95, v7
	v_add_f16_e32 v62, v62, v66
	v_fma_f16 v66, v5, s16, -v26
	v_mul_f16_e32 v7, 0xb94e, v7
	v_fma_f16 v5, v5, s16, v26
	v_add_f16_e32 v3, v5, v3
	v_fma_f16 v5, v6, s16, -v7
	v_add_f16_e32 v64, v64, v68
	v_fma_f16 v68, v6, s16, v7
	v_add_f16_e32 v4, v5, v4
	v_add_f16_e32 v5, v20, v25
	v_sub_f16_e32 v7, v20, v25
	v_sub_f16_e32 v20, v41, v46
	v_mul_f16_e32 v25, 0xbb7b, v20
	v_fma_f16 v26, v5, s3, -v25
	v_add_f16_e32 v63, v63, v67
	v_fma_f16 v67, v6, s1, v65
	v_fma_f16 v65, v6, s1, -v65
	v_add_f16_e32 v6, v41, v46
	v_add_f16_e32 v26, v26, v38
	v_mul_f16_e32 v38, 0xbb7b, v7
	v_fma_f16 v25, v5, s3, v25
	v_add_f16_e32 v25, v25, v27
	v_fma_f16 v27, v6, s3, -v38
	v_add_f16_e32 v27, v27, v33
	v_mul_f16_e32 v33, 0x394e, v20
	v_fma_f16 v41, v6, s3, v38
	v_fma_f16 v38, v5, s16, -v33
	v_add_f16_e32 v38, v38, v40
	v_mul_f16_e32 v40, 0x394e, v7
	v_fma_f16 v33, v5, s16, v33
	v_fma_f16 v46, v6, s16, v40
	v_add_f16_e32 v33, v33, v39
	v_fma_f16 v39, v6, s16, -v40
	v_mul_f16_e32 v40, 0x3770, v20
	v_add_f16_e32 v41, v41, v47
	v_fma_f16 v47, v5, s2, -v40
	v_fma_f16 v40, v5, s2, v40
	v_add_f16_e32 v39, v39, v48
	v_mul_f16_e32 v48, 0x3770, v7
	v_add_f16_e32 v40, v40, v53
	v_mul_f16_e32 v53, 0xbbf1, v20
	v_add_f16_e32 v46, v46, v54
	v_add_f16_e32 v47, v47, v55
	v_fma_f16 v54, v6, s2, v48
	v_fma_f16 v48, v6, s2, -v48
	v_fma_f16 v55, v5, s0, -v53
	v_fma_f16 v53, v5, s0, v53
	v_add_f16_e32 v48, v48, v57
	v_mul_f16_e32 v57, 0xbbf1, v7
	v_add_f16_e32 v53, v53, v58
	v_mul_f16_e32 v58, 0x33a8, v20
	v_add_f16_e32 v54, v54, v59
	v_add_f16_e32 v55, v55, v60
	v_fma_f16 v59, v6, s0, v57
	v_fma_f16 v57, v6, s0, -v57
	v_fma_f16 v60, v5, s17, -v58
	v_fma_f16 v58, v5, s17, v58
	v_mul_f16_e32 v20, 0x3a95, v20
	v_add_f16_e32 v57, v57, v61
	v_mul_f16_e32 v61, 0x33a8, v7
	v_add_f16_e32 v58, v58, v62
	v_fma_f16 v62, v5, s1, -v20
	v_mul_f16_e32 v7, 0x3a95, v7
	v_fma_f16 v5, v5, s1, v20
	v_add_f16_e32 v3, v5, v3
	v_fma_f16 v5, v6, s1, -v7
	v_sub_f16_e32 v20, v42, v45
	v_add_f16_e32 v60, v60, v64
	v_fma_f16 v64, v6, s1, v7
	v_add_f16_e32 v4, v5, v4
	v_add_f16_e32 v5, v21, v24
	v_sub_f16_e32 v7, v21, v24
	v_mul_f16_e32 v21, 0xb94e, v20
	v_fma_f16 v24, v5, s16, -v21
	v_add_f16_e32 v59, v59, v63
	v_fma_f16 v63, v6, s17, v61
	v_fma_f16 v61, v6, s17, -v61
	v_add_f16_e32 v6, v42, v45
	v_add_f16_e32 v24, v24, v26
	v_mul_f16_e32 v26, 0xb94e, v7
	v_fma_f16 v21, v5, s16, v21
	v_fma_f16 v42, v6, s16, v26
	v_add_f16_e32 v21, v21, v25
	v_fma_f16 v25, v6, s16, -v26
	v_mul_f16_e32 v26, 0x3bf1, v20
	v_add_f16_e32 v25, v25, v27
	v_fma_f16 v27, v5, s0, -v26
	v_add_f16_e32 v27, v27, v38
	v_mul_f16_e32 v38, 0x3bf1, v7
	v_fma_f16 v26, v5, s0, v26
	v_add_f16_e32 v41, v42, v41
	v_fma_f16 v42, v6, s0, v38
	v_add_f16_e32 v26, v26, v33
	v_fma_f16 v33, v6, s0, -v38
	v_mul_f16_e32 v38, 0xba95, v20
	v_add_f16_e32 v33, v33, v39
	v_fma_f16 v39, v5, s1, -v38
	v_add_f16_e32 v45, v39, v47
	v_mul_f16_e32 v39, 0xba95, v7
	v_fma_f16 v38, v5, s1, v38
	v_add_f16_e32 v40, v38, v40
	v_fma_f16 v38, v6, s1, -v39
	v_add_f16_e32 v47, v38, v48
	v_mul_f16_e32 v38, 0x33a8, v20
	v_add_f16_e32 v42, v42, v46
	v_fma_f16 v46, v6, s1, v39
	v_fma_f16 v39, v5, s17, -v38
	v_add_f16_e32 v65, v65, v69
	v_add_f16_e32 v48, v39, v55
	v_mul_f16_e32 v39, 0x33a8, v7
	v_fma_f16 v38, v5, s17, v38
	v_add_f16_e32 v61, v61, v65
	v_add_f16_e32 v65, v38, v53
	v_fma_f16 v38, v6, s17, -v39
	v_add_f16_e32 v57, v38, v57
	v_mul_f16_e32 v38, 0x3770, v20
	v_add_f16_e32 v46, v46, v54
	v_fma_f16 v54, v6, s17, v39
	v_fma_f16 v39, v5, s2, -v38
	v_add_f16_e32 v70, v70, v74
	v_add_f16_e32 v60, v39, v60
	v_mul_f16_e32 v39, 0x3770, v7
	v_fma_f16 v38, v5, s2, v38
	v_add_f16_e32 v66, v66, v70
	v_add_f16_e32 v58, v38, v58
	v_fma_f16 v38, v6, s2, -v39
	v_mul_f16_e32 v20, 0xbb7b, v20
	v_add_f16_e32 v62, v62, v66
	v_add_f16_e32 v66, v38, v61
	v_fma_f16 v38, v5, s3, -v20
	v_mul_f16_e32 v7, 0xbb7b, v7
	v_fma_f16 v5, v5, s3, v20
	v_add_f16_e32 v3, v5, v3
	v_fma_f16 v5, v6, s3, -v7
	v_sub_f16_e32 v20, v43, v44
	v_add_f16_e32 v62, v38, v62
	v_fma_f16 v38, v6, s3, v7
	v_add_f16_e32 v4, v5, v4
	v_add_f16_e32 v5, v22, v23
	v_sub_f16_e32 v7, v22, v23
	v_mul_f16_e32 v22, 0xb3a8, v20
	v_add_f16_e32 v71, v71, v73
	v_fma_f16 v23, v5, s17, -v22
	v_add_f16_e32 v72, v72, v75
	v_add_f16_e32 v67, v67, v71
	v_fma_f16 v53, v6, s2, v39
	v_add_f16_e32 v6, v43, v44
	v_add_f16_e32 v23, v23, v24
	v_mul_f16_e32 v24, 0xb3a8, v7
	v_fma_f16 v22, v5, s17, v22
	v_add_f16_e32 v68, v68, v72
	v_add_f16_e32 v63, v63, v67
	;; [unrolled: 1-line block ×3, first 2 shown]
	v_fma_f16 v21, v6, s17, -v24
	v_add_f16_e32 v64, v64, v68
	v_add_f16_e32 v63, v53, v63
	;; [unrolled: 1-line block ×3, first 2 shown]
	v_mul_f16_e32 v21, 0x3770, v20
	v_add_f16_e32 v64, v38, v64
	v_fma_f16 v38, v6, s17, v24
	v_fma_f16 v22, v5, s2, -v21
	v_mul_f16_e32 v24, 0x3770, v7
	v_fma_f16 v21, v5, s2, v21
	v_add_f16_e32 v43, v38, v41
	v_add_f16_e32 v38, v21, v26
	v_fma_f16 v21, v6, s2, -v24
	v_add_f16_e32 v59, v54, v59
	v_add_f16_e32 v54, v21, v33
	v_mul_f16_e32 v21, 0xb94e, v20
	v_fma_f16 v25, v6, s2, v24
	v_fma_f16 v24, v5, s16, -v21
	v_mul_f16_e32 v26, 0xb94e, v7
	v_fma_f16 v21, v5, s16, v21
	v_add_f16_e32 v41, v21, v40
	v_fma_f16 v21, v6, s16, -v26
	v_add_f16_e32 v55, v21, v47
	v_mul_f16_e32 v21, 0x3a95, v20
	v_mul_f16_e32 v33, 0x3a95, v7
	v_add_f16_e32 v22, v22, v27
	v_fma_f16 v27, v6, s16, v26
	v_fma_f16 v26, v5, s1, -v21
	v_fma_f16 v40, v6, s1, v33
	v_fma_f16 v21, v5, s1, v21
	v_add_f16_e32 v25, v25, v42
	v_add_f16_e32 v42, v40, v59
	;; [unrolled: 1-line block ×3, first 2 shown]
	v_fma_f16 v21, v6, s1, -v33
	v_add_f16_e32 v61, v21, v57
	v_mul_f16_e32 v21, 0xbb7b, v20
	v_fma_f16 v33, v5, s3, -v21
	v_add_f16_e32 v44, v33, v60
	v_mul_f16_e32 v33, 0xbb7b, v7
	v_add_f16_e32 v24, v24, v45
	v_fma_f16 v45, v6, s3, v33
	v_fma_f16 v33, v6, s3, -v33
	v_mul_f16_e32 v20, 0x3bf1, v20
	v_add_f16_e32 v27, v27, v46
	v_add_f16_e32 v46, v33, v66
	v_fma_f16 v33, v5, s0, -v20
	v_mul_f16_e32 v7, 0x3bf1, v7
	v_add_f16_e32 v47, v33, v62
	v_fma_f16 v33, v6, s0, v7
	v_add_f16_e32 v26, v26, v48
	v_fma_f16 v21, v5, s3, v21
	;; [unrolled: 2-line block ×3, first 2 shown]
	v_add_lshl_u32 v33, v1, v2, 2
	v_pack_b32_f16 v1, v49, v56
	v_pack_b32_f16 v2, v23, v43
	v_add_f16_e32 v45, v45, v63
	v_add_f16_e32 v3, v5, v3
	v_fma_f16 v5, v6, s0, -v7
	ds_write2_b32 v33, v1, v2 offset1:17
	v_pack_b32_f16 v1, v22, v25
	v_pack_b32_f16 v2, v24, v27
	v_add_f16_e32 v4, v5, v4
	ds_write2_b32 v33, v1, v2 offset0:34 offset1:51
	v_pack_b32_f16 v1, v26, v42
	v_pack_b32_f16 v2, v44, v45
	v_add_f16_e32 v21, v21, v58
	ds_write2_b32 v33, v1, v2 offset0:68 offset1:85
	v_pack_b32_f16 v1, v47, v48
	v_pack_b32_f16 v2, v3, v4
	ds_write2_b32 v33, v1, v2 offset0:102 offset1:119
	v_pack_b32_f16 v1, v21, v46
	v_pack_b32_f16 v2, v40, v61
	;; [unrolled: 3-line block ×3, first 2 shown]
	ds_write2_b32 v33, v1, v2 offset0:170 offset1:187
	v_pack_b32_f16 v1, v39, v53
	v_add_u32_e32 v63, 0x680, v28
	v_add_u32_e32 v64, 0xd80, v28
	ds_write_b32 v33, v1 offset:816
	s_waitcnt lgkmcnt(0)
	s_barrier
	ds_read2_b32 v[42:43], v28 offset1:221
	ds_read2_b32 v[44:45], v63 offset0:26 offset1:247
	ds_read2_b32 v[46:47], v64 offset0:20 offset1:241
	;; [unrolled: 1-line block ×3, first 2 shown]
	ds_read_b32 v56, v28 offset:7072
	s_movk_i32 s0, 0x44
	v_cmp_gt_u16_e64 s[2:3], s0, v30
                                        ; implicit-def: $vgpr57
                                        ; implicit-def: $vgpr58
	s_and_saveexec_b64 s[0:1], s[2:3]
	s_cbranch_execz .LBB0_9
; %bb.8:
	v_add_u32_e32 v1, 0x200, v28
	ds_read2_b32 v[40:41], v1 offset0:25 offset1:246
	v_add_u32_e32 v1, 0x900, v28
	ds_read2_b32 v[38:39], v1 offset0:19 offset1:240
	;; [unrolled: 2-line block ×3, first 2 shown]
	ds_read2_b32 v[34:35], v0 offset0:7 offset1:228
	ds_read_b32 v57, v28 offset:7684
	s_waitcnt lgkmcnt(4)
	v_lshrrev_b32_e32 v61, 16, v40
	v_lshrrev_b32_e32 v55, 16, v41
	s_waitcnt lgkmcnt(3)
	v_lshrrev_b32_e32 v54, 16, v38
	v_lshrrev_b32_e32 v53, 16, v39
	;; [unrolled: 3-line block ×4, first 2 shown]
	s_waitcnt lgkmcnt(0)
	v_lshrrev_b32_e32 v58, 16, v57
.LBB0_9:
	s_or_b64 exec, exec, s[0:1]
	s_movk_i32 s16, 0xffbc
	v_lshlrev_b32_e32 v0, 5, v30
	s_mov_b64 s[0:1], 0x99
	s_mov_b32 s17, -1
	global_load_dwordx4 v[20:23], v0, s[6:7] offset:816
	global_load_dwordx4 v[24:27], v0, s[6:7] offset:832
	v_lshl_add_u64 v[0:1], v[30:31], 0, s[0:1]
	v_lshl_add_u64 v[2:3], v[30:31], 0, s[16:17]
	v_cndmask_b32_e64 v1, v3, v1, s[2:3]
	v_cndmask_b32_e64 v0, v2, v0, s[2:3]
	v_lshlrev_b64 v[0:1], 5, v[0:1]
	v_lshl_add_u64 v[66:67], s[6:7], 0, v[0:1]
	global_load_dwordx4 v[0:3], v[66:67], off offset:816
	global_load_dwordx4 v[4:7], v[66:67], off offset:832
	s_waitcnt lgkmcnt(4)
	v_lshrrev_b32_e32 v59, 16, v43
	s_waitcnt lgkmcnt(3)
	v_lshrrev_b32_e32 v60, 16, v44
	;; [unrolled: 2-line block ×4, first 2 shown]
	v_lshrrev_b32_e32 v68, 16, v49
	v_lshrrev_b32_e32 v62, 16, v45
	;; [unrolled: 1-line block ×4, first 2 shown]
	s_movk_i32 s0, 0x3be1
	s_movk_i32 s1, 0x3aee
	;; [unrolled: 1-line block ×4, first 2 shown]
	v_lshrrev_b32_e32 v31, 16, v42
	s_movk_i32 s16, 0x318f
	s_mov_b32 s17, 0xbb84
	s_mov_b32 s19, 0xbaee
	s_mov_b32 s18, 0xb924
	s_waitcnt vmcnt(3)
	v_mul_f16_sdwa v70, v59, v20 dst_sel:DWORD dst_unused:UNUSED_PAD src0_sel:DWORD src1_sel:WORD_1
	v_mul_f16_sdwa v71, v43, v20 dst_sel:DWORD dst_unused:UNUSED_PAD src0_sel:DWORD src1_sel:WORD_1
	;; [unrolled: 1-line block ×3, first 2 shown]
	s_waitcnt vmcnt(2)
	v_mul_f16_sdwa v81, v67, v25 dst_sel:DWORD dst_unused:UNUSED_PAD src0_sel:DWORD src1_sel:WORD_1
	v_mul_f16_sdwa v85, v69, v27 dst_sel:DWORD dst_unused:UNUSED_PAD src0_sel:DWORD src1_sel:WORD_1
	;; [unrolled: 1-line block ×6, first 2 shown]
	v_fma_f16 v43, v43, v20, -v70
	v_fma_f16 v59, v59, v20, v71
	v_fma_f16 v44, v44, v21, -v72
	v_fma_f16 v48, v48, v25, -v81
	;; [unrolled: 1-line block ×3, first 2 shown]
	s_waitcnt vmcnt(1)
	v_mul_f16_sdwa v70, v55, v0 dst_sel:DWORD dst_unused:UNUSED_PAD src0_sel:DWORD src1_sel:WORD_1
	v_mul_f16_sdwa v71, v41, v0 dst_sel:DWORD dst_unused:UNUSED_PAD src0_sel:DWORD src1_sel:WORD_1
	;; [unrolled: 1-line block ×3, first 2 shown]
	s_waitcnt vmcnt(0)
	v_mul_f16_sdwa v81, v50, v5 dst_sel:DWORD dst_unused:UNUSED_PAD src0_sel:DWORD src1_sel:WORD_1
	v_mul_f16_sdwa v74, v62, v22 dst_sel:DWORD dst_unused:UNUSED_PAD src0_sel:DWORD src1_sel:WORD_1
	v_mul_f16_sdwa v84, v49, v26 dst_sel:DWORD dst_unused:UNUSED_PAD src0_sel:DWORD src1_sel:WORD_1
	v_fma_f16 v60, v60, v21, v73
	v_fma_f16 v67, v67, v25, v82
	v_fma_f16 v49, v49, v26, -v83
	v_mul_f16_sdwa v73, v38, v1 dst_sel:DWORD dst_unused:UNUSED_PAD src0_sel:DWORD src1_sel:WORD_1
	v_mul_f16_sdwa v82, v34, v5 dst_sel:DWORD dst_unused:UNUSED_PAD src0_sel:DWORD src1_sel:WORD_1
	;; [unrolled: 1-line block ×3, first 2 shown]
	v_fma_f16 v41, v41, v0, -v70
	v_fma_f16 v70, v55, v0, v71
	v_fma_f16 v71, v38, v1, -v72
	v_fma_f16 v72, v34, v5, -v81
	v_sub_f16_e32 v34, v43, v56
	v_mul_f16_sdwa v75, v45, v22 dst_sel:DWORD dst_unused:UNUSED_PAD src0_sel:DWORD src1_sel:WORD_1
	v_mul_f16_sdwa v77, v65, v23 dst_sel:DWORD dst_unused:UNUSED_PAD src0_sel:DWORD src1_sel:WORD_1
	;; [unrolled: 1-line block ×3, first 2 shown]
	v_fma_f16 v45, v45, v22, -v74
	v_fma_f16 v68, v68, v26, v84
	v_mul_f16_sdwa v84, v35, v6 dst_sel:DWORD dst_unused:UNUSED_PAD src0_sel:DWORD src1_sel:WORD_1
	v_fma_f16 v54, v54, v1, v73
	v_fma_f16 v73, v35, v6, -v83
	v_add_f16_e32 v81, v44, v49
	v_sub_f16_e32 v49, v44, v49
	v_mul_f16_e32 v35, 0x3924, v34
	v_mul_f16_sdwa v78, v46, v23 dst_sel:DWORD dst_unused:UNUSED_PAD src0_sel:DWORD src1_sel:WORD_1
	v_mul_f16_sdwa v80, v47, v24 dst_sel:DWORD dst_unused:UNUSED_PAD src0_sel:DWORD src1_sel:WORD_1
	v_fma_f16 v62, v62, v22, v75
	v_fma_f16 v46, v46, v23, -v77
	v_fma_f16 v47, v47, v24, -v79
	v_fma_f16 v69, v69, v27, v86
	v_mul_f16_sdwa v75, v39, v2 dst_sel:DWORD dst_unused:UNUSED_PAD src0_sel:DWORD src1_sel:WORD_1
	v_mul_f16_sdwa v79, v51, v4 dst_sel:DWORD dst_unused:UNUSED_PAD src0_sel:DWORD src1_sel:WORD_1
	v_add_f16_e32 v83, v45, v48
	v_sub_f16_e32 v48, v45, v48
	v_fma_f16 v35, v49, s0, v35
	v_fma_f16 v66, v66, v24, v80
	v_mul_f16_sdwa v74, v53, v2 dst_sel:DWORD dst_unused:UNUSED_PAD src0_sel:DWORD src1_sel:WORD_1
	v_mul_f16_sdwa v77, v52, v3 dst_sel:DWORD dst_unused:UNUSED_PAD src0_sel:DWORD src1_sel:WORD_1
	;; [unrolled: 1-line block ×3, first 2 shown]
	v_fma_f16 v53, v53, v2, v75
	v_fma_f16 v75, v37, v4, -v79
	v_fma_f16 v50, v50, v5, v82
	v_add_f16_e32 v79, v43, v56
	v_add_f16_e32 v82, v60, v68
	v_sub_f16_e32 v43, v59, v69
	v_sub_f16_e32 v60, v60, v68
	v_fma_f16 v35, v48, s1, v35
	v_sub_f16_e32 v68, v46, v47
	v_fma_f16 v65, v65, v23, v78
	v_mul_f16_sdwa v78, v36, v3 dst_sel:DWORD dst_unused:UNUSED_PAD src0_sel:DWORD src1_sel:WORD_1
	v_fma_f16 v39, v39, v2, -v74
	v_fma_f16 v74, v36, v3, -v77
	v_fma_f16 v51, v51, v4, v80
	v_add_f16_e32 v80, v59, v69
	v_mul_f16_e32 v36, 0x3924, v43
	v_fma_f16 v37, v68, s6, v35
	v_fma_f16 v35, v79, s7, v42
	v_mul_f16_sdwa v85, v58, v7 dst_sel:DWORD dst_unused:UNUSED_PAD src0_sel:DWORD src1_sel:WORD_1
	v_fma_f16 v29, v29, v6, v84
	v_add_f16_e32 v84, v62, v67
	v_sub_f16_e32 v67, v62, v67
	v_fma_f16 v36, v60, s0, v36
	v_fma_f16 v38, v80, s7, v31
	;; [unrolled: 1-line block ×3, first 2 shown]
	v_mul_f16_sdwa v86, v57, v7 dst_sel:DWORD dst_unused:UNUSED_PAD src0_sel:DWORD src1_sel:WORD_1
	v_fma_f16 v77, v57, v7, -v85
	v_fma_f16 v36, v67, s1, v36
	v_sub_f16_e32 v69, v65, v66
	v_fma_f16 v38, v82, s16, v38
	v_fma_f16 v35, v83, -0.5, v35
	v_add_f16_e32 v85, v46, v47
	v_fma_f16 v52, v52, v3, v78
	v_fma_f16 v78, v58, v7, v86
	;; [unrolled: 1-line block ×3, first 2 shown]
	v_fma_f16 v38, v84, -0.5, v38
	v_add_f16_e32 v86, v65, v66
	v_fma_f16 v35, v85, s17, v35
	v_fma_f16 v38, v86, s17, v38
	v_add_f16_e32 v35, v36, v35
	v_sub_f16_e32 v55, v38, v37
	v_fma_f16 v38, v36, -2.0, v35
	v_mul_f16_e32 v36, 0xb924, v68
	v_fma_f16 v36, v34, s0, v36
	v_fma_f16 v36, v48, s19, v36
	v_fma_f16 v57, v37, 2.0, v55
	v_mul_f16_e32 v37, 0xb924, v69
	v_fma_f16 v44, v49, s6, v36
	v_fma_f16 v36, v85, s7, v42
	;; [unrolled: 1-line block ×7, first 2 shown]
	v_fma_f16 v36, v83, -0.5, v36
	v_fma_f16 v37, v60, s6, v37
	v_fma_f16 v45, v84, -0.5, v45
	v_fma_f16 v36, v81, s17, v36
	v_fma_f16 v45, v82, s17, v45
	v_add_f16_e32 v36, v37, v36
	v_sub_f16_e32 v56, v45, v44
	v_fma_f16 v45, v37, -2.0, v36
	v_add_f16_e32 v37, v68, v34
	v_mul_f16_e32 v68, 0x3be1, v68
	v_sub_f16_e32 v58, v37, v49
	v_fma_f16 v49, v49, s18, -v68
	v_fma_f16 v59, v44, 2.0, v56
	v_add_f16_e32 v44, v69, v43
	v_add_f16_e32 v89, v81, v79
	v_mul_f16_e32 v69, 0x3be1, v69
	v_fma_f16 v48, v48, s1, v49
	v_sub_f16_e32 v37, v44, v60
	v_fma_f16 v60, v60, s18, -v69
	v_fma_f16 v48, v34, s6, v48
	v_add_f16_e32 v34, v83, v89
	v_add_f16_e32 v90, v82, v80
	v_fma_f16 v49, v67, s1, v60
	v_add_f16_e32 v34, v46, v34
	v_fma_f16 v43, v43, s6, v49
	v_add_f16_e32 v49, v84, v90
	v_add_f16_e32 v34, v47, v34
	;; [unrolled: 1-line block ×5, first 2 shown]
	v_fma_f16 v42, v81, s7, v42
	v_add_f16_e32 v46, v66, v46
	v_fma_f16 v42, v85, s16, v42
	v_add_f16_e32 v88, v84, v31
	v_add_f16_e32 v60, v46, v31
	v_fma_f16 v31, v82, s7, v31
	v_fma_f16 v42, v83, -0.5, v42
	v_fma_f16 v31, v86, s16, v31
	v_fma_f16 v42, v79, s17, v42
	v_fma_f16 v31, v84, -0.5, v31
	v_add_f16_e32 v46, v43, v42
	v_fma_f16 v31, v80, s17, v31
	v_fma_f16 v47, v43, -2.0, v46
	v_add_f16_e32 v42, v41, v77
	v_add_f16_e32 v43, v70, v78
	v_sub_f16_e32 v41, v41, v77
	v_sub_f16_e32 v65, v31, v48
	v_add_f16_e32 v79, v71, v73
	v_add_f16_e32 v80, v54, v29
	;; [unrolled: 1-line block ×3, first 2 shown]
	v_sub_f16_e32 v77, v70, v78
	v_sub_f16_e32 v71, v71, v73
	;; [unrolled: 1-line block ×3, first 2 shown]
	v_mul_f16_e32 v31, 0x3924, v41
	v_fma_f16 v50, v43, s7, v61
	v_add_f16_e32 v81, v39, v72
	v_sub_f16_e32 v39, v39, v72
	v_fma_f16 v31, v71, s0, v31
	v_fma_f16 v50, v80, s16, v50
	v_add_f16_e32 v92, v86, v90
	v_fma_f16 v31, v39, s1, v31
	v_sub_f16_e32 v83, v74, v75
	v_fma_f16 v50, v82, -0.5, v50
	v_add_f16_e32 v86, v52, v51
	v_fma_f16 v49, v83, s6, v31
	v_fma_f16 v50, v86, s17, v50
	v_sub_f16_e32 v67, v50, v49
	v_fma_f16 v189, v49, 2.0, v67
	v_mul_f16_e32 v49, 0xb924, v83
	v_fma_f16 v49, v41, s0, v49
	v_add_f16_e32 v91, v85, v89
	v_sub_f16_e32 v84, v52, v51
	v_add_f16_e32 v85, v74, v75
	v_fma_f16 v49, v39, s19, v49
	v_mul_f16_e32 v50, 0xb924, v84
	v_fma_f16 v53, v71, s6, v49
	v_fma_f16 v49, v85, s7, v40
	;; [unrolled: 1-line block ×4, first 2 shown]
	v_sub_f16_e32 v29, v54, v29
	v_fma_f16 v50, v78, s19, v50
	v_fma_f16 v49, v81, -0.5, v49
	v_fma_f16 v50, v29, s6, v50
	v_fma_f16 v49, v79, s17, v49
	v_add_f16_e32 v49, v50, v49
	v_fma_f16 v70, v50, -2.0, v49
	v_add_f16_e32 v50, v83, v41
	v_mul_f16_e32 v83, 0x3be1, v83
	v_fma_f16 v68, v86, s7, v61
	v_sub_f16_e32 v72, v50, v71
	v_fma_f16 v71, v71, s18, -v83
	v_fma_f16 v68, v43, s16, v68
	v_add_f16_e32 v89, v79, v42
	v_fma_f16 v39, v39, s1, v71
	v_fma_f16 v66, v48, 2.0, v65
	v_mul_f16_e32 v48, 0x3924, v77
	v_fma_f16 v68, v82, -0.5, v68
	v_add_f16_e32 v90, v80, v43
	v_fma_f16 v41, v41, s6, v39
	v_add_f16_e32 v39, v81, v89
	v_fma_f16 v48, v29, s0, v48
	v_fma_f16 v68, v80, s17, v68
	v_add_f16_e32 v71, v82, v90
	v_add_f16_e32 v39, v74, v39
	v_fma_f16 v87, v91, -0.5, v87
	v_fma_f16 v48, v78, s1, v48
	v_sub_f16_e32 v68, v68, v53
	v_add_f16_e32 v52, v52, v71
	v_add_f16_e32 v39, v75, v39
	v_mul_f16_e32 v44, 0x3aee, v37
	v_fma_f16 v37, v37, s1, v87
	v_fma_f16 v31, v84, s6, v48
	;; [unrolled: 1-line block ×3, first 2 shown]
	v_fma_f16 v69, v53, 2.0, v68
	v_add_f16_e32 v53, v84, v77
	v_add_f16_e32 v87, v40, v81
	v_mul_f16_e32 v84, 0x3be1, v84
	v_add_f16_e32 v51, v51, v52
	v_add_f16_e32 v39, v40, v39
	v_fma_f16 v40, v79, s7, v40
	v_sub_f16_e32 v50, v53, v29
	v_fma_f16 v29, v29, s18, -v84
	v_add_f16_e32 v71, v61, v51
	v_fma_f16 v51, v80, s7, v61
	v_fma_f16 v40, v85, s16, v40
	;; [unrolled: 1-line block ×4, first 2 shown]
	v_fma_f16 v40, v81, -0.5, v40
	v_fma_f16 v29, v77, s6, v29
	v_fma_f16 v51, v82, -0.5, v51
	v_fma_f16 v40, v42, s17, v40
	;; [unrolled: 2-line block ×3, first 2 shown]
	v_add_f16_e32 v51, v29, v40
	v_mul_f16_e32 v62, 0x3aee, v58
	v_fma_f16 v58, v58, s19, v88
	v_fma_f16 v48, v79, s16, v48
	v_fma_f16 v52, v29, -2.0, v51
	v_pack_b32_f16 v29, v34, v60
	v_pack_b32_f16 v40, v35, v55
	v_fma_f16 v48, v81, -0.5, v48
	v_add_f16_e32 v88, v61, v82
	v_add_f16_e32 v91, v85, v89
	;; [unrolled: 1-line block ×3, first 2 shown]
	ds_write2_b32 v28, v29, v40 offset1:221
	v_pack_b32_f16 v29, v36, v56
	v_pack_b32_f16 v40, v37, v58
	v_fma_f16 v44, v44, -2.0, v37
	v_fma_f16 v62, v62, 2.0, v58
	v_fma_f16 v48, v85, s17, v48
	v_fma_f16 v87, v91, -0.5, v87
	v_fma_f16 v88, v92, -0.5, v88
	ds_write2_b32 v63, v29, v40 offset0:26 offset1:247
	v_pack_b32_f16 v29, v46, v65
	v_pack_b32_f16 v40, v47, v66
	v_add_f16_e32 v48, v31, v48
	v_mul_f16_e32 v73, 0x3aee, v72
	v_mul_f16_e32 v53, 0x3aee, v50
	v_fma_f16 v50, v50, s1, v87
	v_fma_f16 v72, v72, s19, v88
	v_sub_f16_e32 v74, v42, v41
	ds_write2_b32 v64, v29, v40 offset0:20 offset1:241
	v_pack_b32_f16 v29, v44, v62
	v_pack_b32_f16 v40, v45, v59
	v_fma_f16 v31, v31, -2.0, v48
	v_fma_f16 v53, v53, -2.0, v50
	v_fma_f16 v73, v73, 2.0, v72
	v_fma_f16 v75, v41, 2.0, v74
	ds_write2_b32 v76, v29, v40 offset0:14 offset1:235
	v_pack_b32_f16 v29, v38, v57
	ds_write_b32 v28, v29 offset:7072
	s_and_saveexec_b64 s[0:1], s[2:3]
	s_cbranch_execz .LBB0_11
; %bb.10:
	s_mov_b32 s6, 0x5040100
	v_perm_b32 v29, v71, v39, s6
	v_perm_b32 v40, v67, v48, s6
	v_add_u32_e32 v41, 0x200, v28
	ds_write2_b32 v41, v29, v40 offset0:25 offset1:246
	v_perm_b32 v29, v68, v49, s6
	v_perm_b32 v40, v72, v50, s6
	v_add_u32_e32 v41, 0x900, v28
	ds_write2_b32 v41, v29, v40 offset0:19 offset1:240
	;; [unrolled: 4-line block ×4, first 2 shown]
	v_perm_b32 v29, v189, v31, s6
	ds_write_b32 v28, v29 offset:7684
.LBB0_11:
	s_or_b64 exec, exec, s[0:1]
	s_waitcnt lgkmcnt(0)
	s_barrier
	s_and_saveexec_b64 s[0:1], s[4:5]
	s_cbranch_execz .LBB0_13
; %bb.12:
	v_mov_b32_e32 v29, 0
	v_lshl_add_u64 v[40:41], s[12:13], 0, v[28:29]
	v_add_co_u32_e32 v42, vcc, 0x1000, v40
	s_mov_b64 s[6:7], 0x1f14
	s_nop 0
	v_addc_co_u32_e32 v43, vcc, 0, v41, vcc
	global_load_dword v29, v[42:43], off offset:3860
	v_lshl_add_u64 v[42:43], v[40:41], 0, s[6:7]
	global_load_dword v61, v[42:43], off offset:468
	global_load_dword v63, v[42:43], off offset:936
	;; [unrolled: 1-line block ×8, first 2 shown]
	s_movk_i32 s6, 0x2000
	v_add_co_u32_e32 v42, vcc, s6, v40
	s_movk_i32 s6, 0x3000
	s_nop 0
	v_addc_co_u32_e32 v43, vcc, 0, v41, vcc
	global_load_dword v87, v[42:43], off offset:3976
	v_add_co_u32_e32 v40, vcc, s6, v40
	ds_read_b32 v76, v28
	s_nop 0
	v_addc_co_u32_e32 v41, vcc, 0, v41, vcc
	global_load_dword v88, v[40:41], off offset:348
	global_load_dword v90, v[40:41], off offset:816
	;; [unrolled: 1-line block ×6, first 2 shown]
	s_waitcnt lgkmcnt(0)
	v_lshrrev_b32_e32 v42, 16, v76
	v_add_u32_e32 v85, 0x400, v28
	v_add_u32_e32 v86, 0x800, v28
	;; [unrolled: 1-line block ×3, first 2 shown]
	s_waitcnt vmcnt(15)
	v_mul_f16_sdwa v43, v42, v29 dst_sel:DWORD dst_unused:UNUSED_PAD src0_sel:DWORD src1_sel:WORD_1
	v_mul_f16_sdwa v77, v76, v29 dst_sel:DWORD dst_unused:UNUSED_PAD src0_sel:DWORD src1_sel:WORD_1
	v_fma_f16 v43, v76, v29, -v43
	v_fma_f16 v29, v42, v29, v77
	v_pack_b32_f16 v29, v43, v29
	ds_write_b32 v28, v29
	global_load_dword v29, v[40:41], off offset:3156
	ds_read2_b32 v[42:43], v28 offset0:117 offset1:234
	ds_read2_b32 v[40:41], v85 offset0:95 offset1:212
	;; [unrolled: 1-line block ×4, first 2 shown]
	s_waitcnt lgkmcnt(2)
	v_lshrrev_b32_e32 v99, 16, v40
	v_lshrrev_b32_e32 v95, 16, v42
	s_waitcnt vmcnt(15)
	v_mul_f16_sdwa v96, v42, v61 dst_sel:DWORD dst_unused:UNUSED_PAD src0_sel:DWORD src1_sel:WORD_1
	v_lshrrev_b32_e32 v97, 16, v43
	s_waitcnt vmcnt(14)
	v_mul_f16_sdwa v98, v43, v63 dst_sel:DWORD dst_unused:UNUSED_PAD src0_sel:DWORD src1_sel:WORD_1
	s_waitcnt vmcnt(13)
	v_mul_f16_sdwa v100, v40, v64 dst_sel:DWORD dst_unused:UNUSED_PAD src0_sel:DWORD src1_sel:WORD_1
	v_lshrrev_b32_e32 v101, 16, v41
	s_waitcnt vmcnt(12)
	v_mul_f16_sdwa v102, v41, v80 dst_sel:DWORD dst_unused:UNUSED_PAD src0_sel:DWORD src1_sel:WORD_1
	s_waitcnt lgkmcnt(1)
	v_lshrrev_b32_e32 v103, 16, v76
	s_waitcnt vmcnt(11)
	v_mul_f16_sdwa v104, v76, v81 dst_sel:DWORD dst_unused:UNUSED_PAD src0_sel:DWORD src1_sel:WORD_1
	v_lshrrev_b32_e32 v105, 16, v77
	v_mul_f16_sdwa v110, v95, v61 dst_sel:DWORD dst_unused:UNUSED_PAD src0_sel:DWORD src1_sel:WORD_1
	v_fma_f16 v95, v95, v61, v96
	v_mul_f16_sdwa v96, v97, v63 dst_sel:DWORD dst_unused:UNUSED_PAD src0_sel:DWORD src1_sel:WORD_1
	v_fma_f16 v97, v97, v63, v98
	;; [unrolled: 2-line block ×4, first 2 shown]
	v_mul_f16_sdwa v102, v103, v81 dst_sel:DWORD dst_unused:UNUSED_PAD src0_sel:DWORD src1_sel:WORD_1
	s_waitcnt vmcnt(10)
	v_mul_f16_sdwa v106, v77, v82 dst_sel:DWORD dst_unused:UNUSED_PAD src0_sel:DWORD src1_sel:WORD_1
	v_fma_f16 v103, v103, v81, v104
	v_mul_f16_sdwa v104, v105, v82 dst_sel:DWORD dst_unused:UNUSED_PAD src0_sel:DWORD src1_sel:WORD_1
	v_fma_f16 v42, v42, v61, -v110
	v_fma_f16 v43, v43, v63, -v96
	;; [unrolled: 1-line block ×4, first 2 shown]
	s_waitcnt lgkmcnt(0)
	v_lshrrev_b32_e32 v109, 16, v79
	v_fma_f16 v105, v105, v82, v106
	v_fma_f16 v41, v41, v80, -v100
	v_fma_f16 v63, v77, v82, -v104
	v_pack_b32_f16 v42, v42, v95
	v_pack_b32_f16 v43, v43, v97
	;; [unrolled: 1-line block ×6, first 2 shown]
	ds_write2_b32 v28, v42, v43 offset0:117 offset1:234
	ds_write2_b32 v85, v40, v41 offset0:95 offset1:212
	;; [unrolled: 1-line block ×3, first 2 shown]
	s_waitcnt vmcnt(8)
	v_mul_f16_sdwa v40, v109, v84 dst_sel:DWORD dst_unused:UNUSED_PAD src0_sel:DWORD src1_sel:WORD_1
	v_add_u32_e32 v61, 0x1000, v28
	v_fma_f16 v42, v79, v84, -v40
	ds_read2_b32 v[40:41], v61 offset0:29 offset1:146
	v_lshrrev_b32_e32 v107, 16, v78
	v_mul_f16_sdwa v108, v78, v83 dst_sel:DWORD dst_unused:UNUSED_PAD src0_sel:DWORD src1_sel:WORD_1
	v_mul_f16_sdwa v106, v107, v83 dst_sel:DWORD dst_unused:UNUSED_PAD src0_sel:DWORD src1_sel:WORD_1
	;; [unrolled: 1-line block ×3, first 2 shown]
	v_fma_f16 v107, v107, v83, v108
	v_fma_f16 v64, v78, v83, -v106
	v_fma_f16 v43, v109, v84, v43
	v_pack_b32_f16 v64, v64, v107
	v_pack_b32_f16 v42, v42, v43
	ds_write2_b32 v89, v64, v42 offset0:51 offset1:168
	s_waitcnt lgkmcnt(1)
	v_lshrrev_b32_e32 v42, 16, v40
	s_waitcnt vmcnt(7)
	v_mul_f16_sdwa v43, v42, v87 dst_sel:DWORD dst_unused:UNUSED_PAD src0_sel:DWORD src1_sel:WORD_1
	v_fma_f16 v43, v40, v87, -v43
	v_mul_f16_sdwa v40, v40, v87 dst_sel:DWORD dst_unused:UNUSED_PAD src0_sel:DWORD src1_sel:WORD_1
	v_lshrrev_b32_e32 v63, 16, v41
	v_fma_f16 v40, v42, v87, v40
	s_waitcnt vmcnt(6)
	v_mul_f16_sdwa v42, v63, v88 dst_sel:DWORD dst_unused:UNUSED_PAD src0_sel:DWORD src1_sel:WORD_1
	v_add_u32_e32 v76, 0x1400, v28
	v_pack_b32_f16 v40, v43, v40
	v_fma_f16 v64, v41, v88, -v42
	ds_read2_b32 v[42:43], v76 offset0:7 offset1:124
	v_mul_f16_sdwa v41, v41, v88 dst_sel:DWORD dst_unused:UNUSED_PAD src0_sel:DWORD src1_sel:WORD_1
	v_fma_f16 v41, v63, v88, v41
	v_pack_b32_f16 v41, v64, v41
	ds_write2_b32 v61, v40, v41 offset0:29 offset1:146
	s_waitcnt lgkmcnt(1)
	v_lshrrev_b32_e32 v40, 16, v42
	s_waitcnt vmcnt(5)
	v_mul_f16_sdwa v41, v40, v90 dst_sel:DWORD dst_unused:UNUSED_PAD src0_sel:DWORD src1_sel:WORD_1
	v_fma_f16 v41, v42, v90, -v41
	v_mul_f16_sdwa v42, v42, v90 dst_sel:DWORD dst_unused:UNUSED_PAD src0_sel:DWORD src1_sel:WORD_1
	v_fma_f16 v40, v40, v90, v42
	v_lshrrev_b32_e32 v61, 16, v43
	v_pack_b32_f16 v42, v41, v40
	s_waitcnt vmcnt(4)
	v_mul_f16_sdwa v40, v61, v91 dst_sel:DWORD dst_unused:UNUSED_PAD src0_sel:DWORD src1_sel:WORD_1
	v_add_u32_e32 v64, 0x1600, v28
	v_fma_f16 v63, v43, v91, -v40
	ds_read2_b32 v[40:41], v64 offset0:113 offset1:230
	v_mul_f16_sdwa v43, v43, v91 dst_sel:DWORD dst_unused:UNUSED_PAD src0_sel:DWORD src1_sel:WORD_1
	v_fma_f16 v43, v61, v91, v43
	v_pack_b32_f16 v43, v63, v43
	ds_write2_b32 v76, v42, v43 offset0:7 offset1:124
	s_waitcnt lgkmcnt(1)
	v_lshrrev_b32_e32 v42, 16, v40
	s_waitcnt vmcnt(3)
	v_mul_f16_sdwa v43, v42, v92 dst_sel:DWORD dst_unused:UNUSED_PAD src0_sel:DWORD src1_sel:WORD_1
	v_fma_f16 v43, v40, v92, -v43
	v_mul_f16_sdwa v40, v40, v92 dst_sel:DWORD dst_unused:UNUSED_PAD src0_sel:DWORD src1_sel:WORD_1
	v_lshrrev_b32_e32 v61, 16, v41
	v_fma_f16 v40, v42, v92, v40
	s_waitcnt vmcnt(2)
	v_mul_f16_sdwa v42, v61, v93 dst_sel:DWORD dst_unused:UNUSED_PAD src0_sel:DWORD src1_sel:WORD_1
	v_add_u32_e32 v76, 0x1a00, v28
	v_pack_b32_f16 v40, v43, v40
	v_fma_f16 v63, v41, v93, -v42
	ds_read2_b32 v[42:43], v76 offset0:91 offset1:208
	v_mul_f16_sdwa v41, v41, v93 dst_sel:DWORD dst_unused:UNUSED_PAD src0_sel:DWORD src1_sel:WORD_1
	v_fma_f16 v41, v61, v93, v41
	v_pack_b32_f16 v41, v63, v41
	ds_write2_b32 v64, v40, v41 offset0:113 offset1:230
	s_waitcnt lgkmcnt(1)
	v_lshrrev_b32_e32 v40, 16, v42
	s_waitcnt vmcnt(1)
	v_mul_f16_sdwa v41, v40, v94 dst_sel:DWORD dst_unused:UNUSED_PAD src0_sel:DWORD src1_sel:WORD_1
	v_fma_f16 v41, v42, v94, -v41
	v_mul_f16_sdwa v42, v42, v94 dst_sel:DWORD dst_unused:UNUSED_PAD src0_sel:DWORD src1_sel:WORD_1
	v_fma_f16 v40, v40, v94, v42
	v_pack_b32_f16 v40, v41, v40
	v_lshrrev_b32_e32 v41, 16, v43
	s_waitcnt vmcnt(0)
	v_mul_f16_sdwa v42, v41, v29 dst_sel:DWORD dst_unused:UNUSED_PAD src0_sel:DWORD src1_sel:WORD_1
	v_fma_f16 v42, v43, v29, -v42
	v_mul_f16_sdwa v43, v43, v29 dst_sel:DWORD dst_unused:UNUSED_PAD src0_sel:DWORD src1_sel:WORD_1
	v_fma_f16 v29, v41, v29, v43
	v_pack_b32_f16 v29, v42, v29
	ds_write2_b32 v76, v40, v29 offset0:91 offset1:208
.LBB0_13:
	s_or_b64 exec, exec, s[0:1]
	s_waitcnt lgkmcnt(0)
	s_barrier
	s_and_saveexec_b64 s[0:1], s[4:5]
	s_cbranch_execz .LBB0_15
; %bb.14:
	v_add_u32_e32 v29, 0x200, v28
	ds_read2_b32 v[36:37], v29 offset0:106 offset1:223
	v_add_u32_e32 v29, 0x600, v28
	ds_read2_b32 v[46:47], v29 offset0:84 offset1:201
	;; [unrolled: 2-line block ×6, first 2 shown]
	v_add_u32_e32 v29, 0x1800, v28
	ds_read2_b32 v[34:35], v28 offset1:117
	ds_read2_b32 v[52:53], v29 offset0:102 offset1:219
	ds_read_b32 v70, v28 offset:7488
	s_waitcnt lgkmcnt(8)
	v_lshrrev_b32_e32 v56, 16, v36
	v_lshrrev_b32_e32 v58, 16, v37
	s_waitcnt lgkmcnt(2)
	v_lshrrev_b32_e32 v60, 16, v34
	v_lshrrev_b32_e32 v55, 16, v35
	;; [unrolled: 1-line block ×12, first 2 shown]
	s_waitcnt lgkmcnt(1)
	v_lshrrev_b32_e32 v75, 16, v52
	v_lshrrev_b32_e32 v73, 16, v53
	s_waitcnt lgkmcnt(0)
	v_lshrrev_b32_e32 v69, 16, v70
.LBB0_15:
	s_or_b64 exec, exec, s[0:1]
	v_sub_f16_e32 v150, v55, v69
	v_add_f16_e32 v95, v70, v35
	v_add_f16_e32 v100, v69, v55
	s_movk_i32 s6, 0x3b76
	v_mul_f16_e32 v76, 0xb5c8, v150
	v_sub_f16_e32 v158, v56, v73
	v_sub_f16_e32 v155, v35, v70
	s_mov_b32 s0, 0xb5c8
	v_mul_f16_e32 v77, 0x3b76, v100
	v_fma_f16 v29, v95, s6, -v76
	s_movk_i32 s7, 0x39e9
	v_add_f16_e32 v105, v53, v36
	v_add_f16_e32 v111, v73, v56
	v_mul_f16_e32 v78, 0xb964, v158
	v_add_f16_e32 v29, v34, v29
	v_fma_f16 v40, v155, s0, v77
	s_mov_b32 s1, 0xb964
	v_mul_f16_e32 v79, 0xb964, v150
	v_sub_f16_e32 v162, v36, v53
	v_mul_f16_e32 v80, 0x39e9, v111
	v_fma_f16 v82, v105, s7, -v78
	v_add_f16_e32 v40, v60, v40
	v_mul_f16_e32 v81, 0x39e9, v100
	v_fma_f16 v41, v95, s7, -v79
	s_movk_i32 s17, 0x2de8
	v_add_f16_e32 v29, v82, v29
	v_fma_f16 v82, v162, s1, v80
	v_mul_f16_e32 v83, 0xbbf7, v158
	v_add_f16_e32 v41, v34, v41
	v_fma_f16 v42, v155, s1, v81
	s_movk_i32 s16, 0x3722
	v_mul_f16_e32 v85, 0xbb29, v150
	s_mov_b32 s23, 0xbbf7
	v_add_f16_e32 v40, v82, v40
	v_mul_f16_e32 v86, 0x2de8, v111
	v_fma_f16 v82, v105, s17, -v83
	v_add_f16_e32 v42, v60, v42
	s_mov_b32 s22, 0xbb29
	v_mul_f16_e32 v88, 0x3722, v100
	v_fma_f16 v43, v95, s16, -v85
	v_add_f16_e32 v41, v82, v41
	v_fma_f16 v82, v162, s23, v86
	s_mov_b32 s18, 0xb8d2
	v_mul_f16_e32 v91, 0xba62, v158
	v_add_f16_e32 v43, v34, v43
	v_fma_f16 v61, v155, s22, v88
	v_mul_f16_e32 v94, 0xbbf7, v150
	v_add_f16_e32 v42, v82, v42
	s_mov_b32 s1, 0xba62
	v_mul_f16_e32 v96, 0xb8d2, v111
	v_fma_f16 v82, v105, s18, -v91
	v_add_f16_e32 v61, v60, v61
	v_mul_f16_e32 v99, 0x2de8, v100
	v_fma_f16 v63, v95, s17, -v94
	v_add_f16_e32 v43, v82, v43
	v_fma_f16 v82, v162, s1, v96
	s_mov_b32 s19, 0xbbdd
	v_mul_f16_e32 v104, 0xb1e1, v158
	v_add_f16_e32 v63, v34, v63
	v_fma_f16 v64, v155, s23, v99
	v_add_f16_e32 v61, v82, v61
	s_mov_b32 s24, 0xb1e1
	v_mul_f16_e32 v109, 0xbbdd, v111
	v_fma_f16 v82, v105, s19, -v104
	v_add_f16_e32 v64, v60, v64
	v_add_f16_e32 v63, v82, v63
	v_fma_f16 v82, v162, s24, v109
	v_sub_f16_e32 v163, v58, v75
	v_add_f16_e32 v64, v82, v64
	v_add_f16_e32 v116, v52, v37
	;; [unrolled: 1-line block ×3, first 2 shown]
	v_mul_f16_e32 v82, 0xbb29, v163
	v_sub_f16_e32 v164, v37, v52
	v_mul_f16_e32 v84, 0x3722, v121
	v_fma_f16 v87, v116, s16, -v82
	v_add_f16_e32 v29, v87, v29
	v_fma_f16 v87, v164, s22, v84
	v_mul_f16_e32 v89, 0xba62, v163
	v_add_f16_e32 v40, v87, v40
	v_mul_f16_e32 v92, 0xb8d2, v121
	v_fma_f16 v87, v116, s18, -v89
	v_add_f16_e32 v41, v87, v41
	v_fma_f16 v87, v164, s1, v92
	v_mul_f16_e32 v101, 0x31e1, v163
	v_add_f16_e32 v42, v87, v42
	s_movk_i32 s20, 0x31e1
	v_mul_f16_e32 v106, 0xbbdd, v121
	v_fma_f16 v87, v116, s19, -v101
	v_add_f16_e32 v43, v87, v43
	v_fma_f16 v87, v164, s20, v106
	s_mov_b32 s20, 0xb461
	v_mul_f16_e32 v114, 0x3bb2, v163
	v_add_f16_e32 v61, v87, v61
	s_movk_i32 s25, 0x3bb2
	v_mul_f16_e32 v119, 0xb461, v121
	v_fma_f16 v87, v116, s20, -v114
	v_add_f16_e32 v63, v87, v63
	v_fma_f16 v87, v164, s25, v119
	v_sub_f16_e32 v165, v65, v74
	v_add_f16_e32 v64, v87, v64
	v_add_f16_e32 v126, v51, v46
	;; [unrolled: 1-line block ×3, first 2 shown]
	v_mul_f16_e32 v87, 0xbbf7, v165
	v_sub_f16_e32 v166, v46, v51
	v_mul_f16_e32 v90, 0x2de8, v132
	v_fma_f16 v93, v126, s17, -v87
	v_add_f16_e32 v29, v93, v29
	v_fma_f16 v93, v166, s23, v90
	v_mul_f16_e32 v97, 0xb1e1, v165
	v_add_f16_e32 v40, v93, v40
	v_mul_f16_e32 v102, 0xbbdd, v132
	v_fma_f16 v93, v126, s19, -v97
	v_add_f16_e32 v41, v93, v41
	v_fma_f16 v93, v166, s24, v102
	v_mul_f16_e32 v110, 0x3bb2, v165
	v_add_f16_e32 v42, v93, v42
	;; [unrolled: 6-line block ×3, first 2 shown]
	s_movk_i32 s26, 0x35c8
	v_mul_f16_e32 v129, 0x3b76, v132
	v_fma_f16 v93, v126, s6, -v124
	v_add_f16_e32 v63, v93, v63
	v_fma_f16 v93, v166, s26, v129
	v_sub_f16_e32 v167, v66, v72
	v_add_f16_e32 v64, v93, v64
	v_add_f16_e32 v136, v50, v47
	v_add_f16_e32 v142, v72, v66
	v_mul_f16_e32 v93, 0xbbb2, v167
	v_sub_f16_e32 v171, v47, v50
	s_mov_b32 s21, 0xbbb2
	v_mul_f16_e32 v98, 0xb461, v142
	v_fma_f16 v103, v136, s20, -v93
	v_add_f16_e32 v29, v103, v29
	v_fma_f16 v103, v171, s21, v98
	s_mov_b32 s21, 0xbacd
	v_mul_f16_e32 v107, 0x3836, v167
	v_add_f16_e32 v40, v103, v40
	s_movk_i32 s27, 0x3836
	v_mul_f16_e32 v113, 0xbacd, v142
	v_fma_f16 v103, v136, s21, -v107
	v_add_f16_e32 v41, v103, v41
	v_fma_f16 v103, v171, s27, v113
	v_mul_f16_e32 v120, 0x3964, v167
	v_add_f16_e32 v42, v103, v42
	s_movk_i32 s27, 0x3964
	v_mul_f16_e32 v127, 0x39e9, v142
	v_fma_f16 v103, v136, s7, -v120
	v_add_f16_e32 v43, v103, v43
	v_fma_f16 v103, v171, s27, v127
	v_mul_f16_e32 v133, 0xbb29, v167
	v_add_f16_e32 v61, v103, v61
	v_mul_f16_e32 v139, 0x3722, v142
	v_fma_f16 v103, v136, s16, -v133
	v_add_f16_e32 v63, v103, v63
	v_fma_f16 v103, v171, s22, v139
	v_sub_f16_e32 v172, v62, v68
	v_add_f16_e32 v64, v103, v64
	v_add_f16_e32 v146, v49, v44
	;; [unrolled: 1-line block ×3, first 2 shown]
	v_mul_f16_e32 v103, 0xba62, v172
	v_sub_f16_e32 v169, v44, v49
	v_mul_f16_e32 v108, 0xb8d2, v149
	v_fma_f16 v112, v146, s18, -v103
	v_add_f16_e32 v29, v112, v29
	v_fma_f16 v112, v169, s1, v108
	v_mul_f16_e32 v117, 0x3bb2, v172
	v_add_f16_e32 v40, v112, v40
	v_mul_f16_e32 v122, 0xb461, v149
	v_fma_f16 v112, v146, s20, -v117
	v_add_f16_e32 v41, v112, v41
	v_fma_f16 v112, v169, s25, v122
	v_mul_f16_e32 v130, 0xb5c8, v172
	v_add_f16_e32 v42, v112, v42
	;; [unrolled: 6-line block ×3, first 2 shown]
	s_mov_b32 s0, 0xb836
	v_mul_f16_e32 v148, 0xbacd, v149
	v_fma_f16 v112, v146, s21, -v144
	v_add_f16_e32 v63, v112, v63
	v_fma_f16 v112, v169, s0, v148
	v_sub_f16_e32 v173, v59, v67
	v_add_f16_e32 v64, v112, v64
	v_add_f16_e32 v153, v48, v45
	;; [unrolled: 1-line block ×3, first 2 shown]
	v_mul_f16_e32 v112, 0xb836, v173
	v_sub_f16_e32 v168, v45, v48
	v_mul_f16_e32 v118, 0xbacd, v156
	v_fma_f16 v123, v153, s21, -v112
	v_add_f16_e32 v29, v123, v29
	v_fma_f16 v123, v168, s0, v118
	v_mul_f16_e32 v125, 0x3b29, v173
	v_add_f16_e32 v40, v123, v40
	s_movk_i32 s1, 0x3b29
	v_mul_f16_e32 v131, 0x3722, v156
	v_fma_f16 v123, v153, s16, -v125
	v_add_f16_e32 v137, v123, v41
	v_fma_f16 v41, v168, s1, v131
	v_mul_f16_e32 v138, 0xbbf7, v173
	v_add_f16_e32 v42, v41, v42
	v_mul_f16_e32 v145, 0x2de8, v156
	v_fma_f16 v41, v153, s17, -v138
	v_add_f16_e32 v43, v41, v43
	v_fma_f16 v41, v168, s23, v145
	v_mul_f16_e32 v151, 0x3a62, v173
	v_add_f16_e32 v140, v41, v61
	s_movk_i32 s1, 0x3a62
	v_mul_f16_e32 v154, 0xb8d2, v156
	v_fma_f16 v41, v153, s18, -v151
	v_sub_f16_e32 v174, v57, v71
	v_add_f16_e32 v143, v41, v63
	v_fma_f16 v41, v168, s1, v154
	v_add_f16_e32 v159, v39, v38
	v_add_f16_e32 v161, v71, v57
	v_mul_f16_e32 v123, 0xb1e1, v174
	v_add_f16_e32 v64, v41, v64
	v_sub_f16_e32 v170, v38, v39
	v_mul_f16_e32 v128, 0xbbdd, v161
	v_fma_f16 v41, v159, s19, -v123
	v_add_f16_e32 v41, v41, v29
	v_fma_f16 v29, v170, s24, v128
	v_mul_f16_e32 v135, 0x35c8, v174
	v_add_f16_e32 v61, v29, v40
	v_mul_f16_e32 v141, 0x3b76, v161
	v_fma_f16 v29, v159, s6, -v135
	v_add_f16_e32 v40, v29, v137
	v_fma_f16 v29, v170, s26, v141
	v_mul_f16_e32 v147, 0xb836, v174
	v_add_f16_e32 v29, v29, v42
	v_mul_f16_e32 v152, 0xbacd, v161
	v_fma_f16 v42, v159, s21, -v147
	v_add_f16_e32 v43, v42, v43
	v_fma_f16 v42, v170, s0, v152
	v_mul_f16_e32 v157, 0x3964, v174
	v_mul_f16_e32 v160, 0x39e9, v161
	v_add_f16_e32 v63, v42, v140
	v_fma_f16 v42, v159, s7, -v157
	v_fma_f16 v137, v170, s27, v160
	v_add_f16_e32 v42, v42, v143
	v_add_f16_e32 v64, v137, v64
	s_barrier
	s_and_saveexec_b64 s[0:1], s[4:5]
	s_cbranch_execz .LBB0_17
; %bb.16:
	v_mul_f16_e32 v54, 0x3b76, v95
	v_accvgpr_write_b32 a0, v54
	v_mul_f16_e32 v54, 0xb5c8, v155
	v_accvgpr_write_b32 a3, v54
	;; [unrolled: 2-line block ×4, first 2 shown]
	v_mul_f16_e32 v54, 0x39e9, v105
	v_mul_f16_e32 v217, 0xbbb2, v155
	v_accvgpr_write_b32 a1, v54
	v_mul_f16_e32 v54, 0xb964, v162
	v_fma_f16 v218, v100, s20, v217
	v_mul_f16_e32 v219, 0x3836, v162
	v_accvgpr_write_b32 a6, v54
	v_mul_f16_e32 v54, 0x2de8, v105
	v_add_f16_e32 v218, v60, v218
	v_fma_f16 v220, v111, s21, v219
	v_accvgpr_write_b32 a12, v54
	v_mul_f16_e32 v54, 0xbbf7, v162
	v_add_f16_e32 v218, v220, v218
	v_mul_f16_e32 v220, 0x3964, v164
	v_accvgpr_write_b32 a19, v54
	v_mul_f16_e32 v54, 0x3722, v116
	v_fma_f16 v221, v121, s7, v220
	v_accvgpr_write_b32 a2, v54
	v_mul_f16_e32 v54, 0xbb29, v164
	v_add_f16_e32 v218, v221, v218
	v_mul_f16_e32 v221, 0xbb29, v166
	v_accvgpr_write_b32 a8, v54
	v_mul_f16_e32 v54, 0xb8d2, v116
	v_fma_f16 v222, v132, s16, v221
	v_accvgpr_write_b32 a15, v54
	v_mul_f16_e32 v54, 0x2de8, v126
	v_add_f16_e32 v218, v222, v218
	v_mul_f16_e32 v222, 0xb1e1, v171
	v_accvgpr_write_b32 a4, v54
	v_mul_f16_e32 v54, 0xbbf7, v166
	v_fma_f16 v223, v142, s19, v222
	v_accvgpr_write_b32 a11, v54
	v_mul_f16_e32 v54, 0xbbdd, v126
	v_add_f16_e32 v218, v223, v218
	v_mul_f16_e32 v223, 0x3bf7, v169
	v_accvgpr_write_b32 a18, v54
	v_mul_f16_e32 v54, 0xb461, v136
	v_fma_f16 v224, v149, s17, v223
	v_accvgpr_write_b32 a7, v54
	v_mul_f16_e32 v54, 0xbbb2, v171
	v_add_f16_e32 v218, v224, v218
	v_mul_f16_e32 v224, 0xb5c8, v168
	v_accvgpr_write_b32 a13, v54
	v_mul_f16_e32 v54, 0xbacd, v136
	v_fma_f16 v225, v156, s6, v224
	v_accvgpr_write_b32 a20, v54
	v_mul_f16_e32 v54, 0xb8d2, v146
	v_add_f16_e32 v218, v225, v218
	v_mul_f16_e32 v225, 0xba62, v170
	v_accvgpr_write_b32 a9, v54
	v_mul_f16_e32 v54, 0xba62, v169
	v_fma_f16 v226, v161, s18, v225
	v_accvgpr_write_b32 a16, v54
	v_add_f16_e32 v54, v226, v218
	v_mul_f16_e32 v226, 0xbbb2, v150
	v_fma_f16 v227, v95, s20, -v226
	v_mul_f16_e32 v228, 0x3836, v158
	v_add_f16_e32 v227, v34, v227
	v_fma_f16 v229, v105, s21, -v228
	v_add_f16_e32 v227, v229, v227
	v_mul_f16_e32 v229, 0x3964, v163
	v_fma_f16 v230, v116, s7, -v229
	v_add_f16_e32 v227, v230, v227
	v_mul_f16_e32 v230, 0xbb29, v165
	;; [unrolled: 3-line block ×6, first 2 shown]
	v_fma_f16 v235, v159, s18, -v234
	v_accvgpr_write_b32 a5, v54
	v_add_f16_e32 v54, v235, v227
	v_mul_f16_e32 v235, 0xba62, v155
	v_fma_f16 v236, v100, s18, v235
	v_mul_f16_e32 v237, 0x3bb2, v162
	v_add_f16_e32 v236, v60, v236
	v_fma_f16 v238, v111, s20, v237
	v_add_f16_e32 v236, v238, v236
	v_mul_f16_e32 v238, 0xb5c8, v164
	v_fma_f16 v239, v121, s6, v238
	v_add_f16_e32 v236, v239, v236
	v_mul_f16_e32 v239, 0xb836, v166
	;; [unrolled: 3-line block ×7, first 2 shown]
	v_fma_f16 v245, v95, s18, -v244
	v_mul_f16_e32 v246, 0x3bb2, v158
	v_add_f16_e32 v245, v34, v245
	v_fma_f16 v247, v105, s20, -v246
	v_add_f16_e32 v245, v247, v245
	v_mul_f16_e32 v247, 0xb5c8, v163
	v_fma_f16 v248, v116, s6, -v247
	v_add_f16_e32 v245, v248, v245
	v_mul_f16_e32 v248, 0xb836, v165
	;; [unrolled: 3-line block ×7, first 2 shown]
	v_fma_f16 v254, v100, s21, v253
	v_mul_f16_e32 v255, 0x3b29, v162
	v_add_f16_e32 v254, v60, v254
	v_fma_f16 v137, v111, s16, v255
	v_add_f16_e32 v137, v137, v254
	v_mul_f16_e32 v254, 0xbbf7, v164
	v_fma_f16 v140, v121, s17, v254
	v_add_f16_e32 v137, v140, v137
	v_mul_f16_e32 v140, 0x3a62, v166
	;; [unrolled: 3-line block ×7, first 2 shown]
	v_accvgpr_write_b32 a14, v54
	v_fma_f16 v204, v95, s21, -v182
	v_mul_f16_e32 v54, 0x3b29, v158
	v_add_f16_e32 v204, v34, v204
	v_fma_f16 v212, v105, s16, -v54
	v_add_f16_e32 v204, v212, v204
	v_mul_f16_e32 v212, 0xbbf7, v163
	v_fma_f16 v176, v116, s17, -v212
	v_add_f16_e32 v176, v176, v204
	v_mul_f16_e32 v204, 0x3a62, v165
	;; [unrolled: 3-line block ×6, first 2 shown]
	v_mul_f16_e32 v179, 0xbb29, v155
	v_mul_f16_e32 v181, 0xbbf7, v155
	v_fma_f16 v190, v159, s20, -v227
	v_mul_f16_e32 v155, 0xb1e1, v155
	v_mul_f16_e32 v186, 0xba62, v162
	v_mul_f16_e32 v188, 0xb1e1, v162
	v_add_f16_e32 v176, v190, v176
	v_fma_f16 v190, v100, s19, v155
	v_mul_f16_e32 v162, 0x35c8, v162
	v_mul_f16_e32 v191, 0xba62, v164
	v_mul_f16_e32 v193, 0x31e1, v164
	v_mul_f16_e32 v195, 0x3bb2, v164
	v_add_f16_e32 v190, v60, v190
	v_fma_f16 v213, v111, s6, v162
	v_mul_f16_e32 v164, 0xb836, v164
	;; [unrolled: 6-line block ×4, first 2 shown]
	v_add_f16_e32 v190, v213, v190
	v_fma_f16 v213, v142, s18, v171
	v_add_f16_e32 v190, v213, v190
	v_mul_f16_e32 v213, 0x3b29, v169
	v_fma_f16 v177, v149, s16, v213
	v_add_f16_e32 v177, v177, v190
	v_mul_f16_e32 v190, 0xbbb2, v168
	;; [unrolled: 3-line block ×3, first 2 shown]
	v_fma_f16 v184, v161, s17, v198
	v_mul_f16_e32 v150, 0xb1e1, v150
	v_fma_f16 v155, v100, s19, -v155
	v_mul_f16_e32 v178, 0x3722, v95
	v_add_f16_e32 v177, v184, v177
	v_fma_f16 v184, v95, s19, -v150
	v_mul_f16_e32 v158, 0x35c8, v158
	v_add_f16_e32 v155, v60, v155
	v_fma_f16 v162, v111, s6, -v162
	v_fma_f16 v150, v95, s19, v150
	v_mul_f16_e32 v185, 0xb8d2, v105
	v_add_f16_e32 v184, v34, v184
	v_fma_f16 v206, v105, s6, -v158
	v_mul_f16_e32 v163, 0xb836, v163
	v_add_f16_e32 v155, v162, v155
	v_fma_f16 v164, v121, s21, -v164
	v_add_f16_e32 v150, v34, v150
	v_fma_f16 v158, v105, s6, v158
	v_add_f16_e32 v85, v178, v85
	v_mul_f16_e32 v192, 0xbbdd, v116
	v_add_f16_e32 v184, v206, v184
	v_fma_f16 v206, v116, s21, -v163
	v_mul_f16_e32 v165, 0x3964, v165
	v_add_f16_e32 v155, v164, v155
	v_fma_f16 v166, v132, s7, -v166
	v_add_f16_e32 v150, v158, v150
	v_fma_f16 v163, v116, s21, v163
	v_add_f16_e32 v85, v34, v85
	v_add_f16_e32 v91, v185, v91
	v_mul_f16_e32 v200, 0xb461, v126
	v_add_f16_e32 v184, v206, v184
	v_fma_f16 v206, v126, s7, -v165
	v_mul_f16_e32 v167, 0xba62, v167
	v_add_f16_e32 v155, v166, v155
	v_fma_f16 v171, v142, s18, -v171
	v_add_f16_e32 v150, v163, v150
	v_fma_f16 v165, v126, s7, v165
	v_add_f16_e32 v85, v91, v85
	;; [unrolled: 10-line block ×4, first 2 shown]
	v_add_f16_e32 v91, v208, v120
	v_add_f16_e32 v184, v206, v184
	v_fma_f16 v206, v153, s20, -v173
	v_add_f16_e32 v155, v190, v155
	v_mul_f16_e32 v190, 0x2de8, v153
	v_add_f16_e32 v150, v172, v150
	v_fma_f16 v173, v153, s20, v173
	v_add_f16_e32 v85, v91, v85
	v_add_f16_e32 v91, v216, v130
	v_add_f16_e32 v150, v173, v150
	v_mul_f16_e32 v173, 0xbacd, v159
	v_add_f16_e32 v85, v91, v85
	v_add_f16_e32 v91, v190, v138
	;; [unrolled: 1-line block ×5, first 2 shown]
	v_accvgpr_read_b32 v91, a17
	v_sub_f16_e32 v81, v81, v91
	v_accvgpr_read_b32 v91, a19
	v_add_f16_e32 v81, v60, v81
	v_sub_f16_e32 v86, v86, v91
	v_add_f16_e32 v81, v86, v81
	v_sub_f16_e32 v86, v92, v191
	;; [unrolled: 2-line block ×3, first 2 shown]
	v_mul_f16_e32 v215, 0x3bb2, v169
	v_add_f16_e32 v81, v86, v81
	v_sub_f16_e32 v86, v113, v207
	v_mul_f16_e32 v213, 0x3b29, v168
	v_add_f16_e32 v81, v86, v81
	v_sub_f16_e32 v86, v122, v215
	;; [unrolled: 3-line block ×3, first 2 shown]
	v_add_f16_e32 v81, v86, v81
	v_sub_f16_e32 v86, v141, v172
	v_add_f16_e32 v81, v86, v81
	v_accvgpr_read_b32 v86, a10
	v_add_f16_e32 v79, v86, v79
	v_accvgpr_read_b32 v86, a12
	v_fma_f16 v253, v100, s21, -v253
	v_add_f16_e32 v79, v34, v79
	v_add_f16_e32 v83, v86, v83
	;; [unrolled: 1-line block ×3, first 2 shown]
	v_fma_f16 v255, v111, s16, -v255
	v_add_f16_e32 v79, v83, v79
	v_accvgpr_read_b32 v83, a15
	v_add_f16_e32 v253, v255, v253
	v_fma_f16 v254, v121, s17, -v254
	v_add_f16_e32 v83, v83, v89
	v_add_f16_e32 v253, v254, v253
	v_fma_f16 v140, v132, s18, -v140
	v_add_f16_e32 v79, v83, v79
	v_accvgpr_read_b32 v83, a18
	v_add_f16_e32 v140, v140, v253
	v_fma_f16 v143, v142, s6, -v143
	v_add_f16_e32 v83, v83, v97
	v_add_f16_e32 v140, v143, v140
	v_fma_f16 v143, v149, s19, -v175
	v_add_f16_e32 v79, v83, v79
	v_accvgpr_read_b32 v83, a20
	v_mul_f16_e32 v214, 0xb461, v146
	v_add_f16_e32 v140, v143, v140
	v_fma_f16 v143, v156, s7, -v196
	v_add_f16_e32 v83, v83, v107
	v_mul_f16_e32 v171, 0x3722, v153
	v_add_f16_e32 v140, v143, v140
	v_fma_f16 v143, v161, s20, -v218
	v_add_f16_e32 v79, v83, v79
	v_add_f16_e32 v83, v214, v117
	v_mul_f16_e32 v167, 0x3b76, v159
	v_add_f16_e32 v140, v143, v140
	v_fma_f16 v143, v95, s21, v182
	v_add_f16_e32 v79, v83, v79
	v_add_f16_e32 v83, v171, v125
	v_add_f16_e32 v143, v34, v143
	v_fma_f16 v54, v105, s16, v54
	v_add_f16_e32 v79, v83, v79
	v_add_f16_e32 v83, v167, v135
	;; [unrolled: 1-line block ×3, first 2 shown]
	v_fma_f16 v143, v116, s17, v212
	v_add_f16_e32 v79, v83, v79
	v_accvgpr_read_b32 v83, a3
	v_add_f16_e32 v54, v143, v54
	v_fma_f16 v143, v126, s18, v204
	v_sub_f16_e32 v77, v77, v83
	v_accvgpr_read_b32 v83, a6
	v_add_f16_e32 v54, v143, v54
	v_fma_f16 v143, v136, s6, v197
	v_add_f16_e32 v77, v60, v77
	v_sub_f16_e32 v80, v80, v83
	v_add_f16_e32 v54, v143, v54
	v_fma_f16 v143, v146, s19, v183
	v_add_f16_e32 v77, v80, v77
	v_accvgpr_read_b32 v80, a8
	v_add_f16_e32 v54, v143, v54
	v_fma_f16 v143, v153, s7, v205
	v_sub_f16_e32 v80, v84, v80
	v_add_f16_e32 v54, v143, v54
	v_fma_f16 v143, v159, s20, v227
	v_add_f16_e32 v77, v80, v77
	v_accvgpr_read_b32 v80, a11
	v_add_f16_e32 v54, v143, v54
	v_fma_f16 v143, v100, s18, -v235
	v_sub_f16_e32 v80, v90, v80
	v_add_f16_e32 v143, v60, v143
	v_fma_f16 v175, v111, s20, -v237
	v_add_f16_e32 v77, v80, v77
	v_accvgpr_read_b32 v80, a13
	v_add_f16_e32 v143, v175, v143
	v_fma_f16 v175, v121, s6, -v238
	v_sub_f16_e32 v80, v98, v80
	v_add_f16_e32 v143, v175, v143
	v_fma_f16 v175, v132, s21, -v239
	v_add_f16_e32 v77, v80, v77
	v_accvgpr_read_b32 v80, a16
	v_mul_f16_e32 v166, 0xb836, v168
	v_add_f16_e32 v143, v175, v143
	v_fma_f16 v175, v142, s17, -v240
	v_sub_f16_e32 v80, v108, v80
	v_mul_f16_e32 v165, 0xb1e1, v170
	v_add_f16_e32 v143, v175, v143
	v_fma_f16 v175, v149, s7, -v241
	v_add_f16_e32 v77, v80, v77
	v_sub_f16_e32 v80, v118, v166
	v_add_f16_e32 v143, v175, v143
	v_fma_f16 v175, v156, s19, -v242
	v_add_f16_e32 v77, v80, v77
	v_sub_f16_e32 v80, v128, v165
	v_mul_f16_e32 v180, 0x2de8, v95
	v_add_f16_e32 v143, v175, v143
	v_fma_f16 v175, v161, s16, -v243
	v_add_f16_e32 v77, v80, v77
	v_accvgpr_read_b32 v80, a0
	v_add_f16_e32 v143, v175, v143
	v_fma_f16 v175, v95, s18, v244
	v_fma_f16 v95, v95, s20, v226
	v_add_f16_e32 v94, v180, v94
	v_add_f16_e32 v76, v80, v76
	;; [unrolled: 1-line block ×12, first 2 shown]
	v_mul_f16_e32 v187, 0xbbdd, v105
	v_fma_f16 v182, v105, s20, v246
	v_fma_f16 v105, v105, s21, v228
	v_accvgpr_read_b32 v80, a1
	v_add_f16_e32 v34, v46, v34
	v_add_f16_e32 v35, v65, v35
	;; [unrolled: 1-line block ×3, first 2 shown]
	v_fma_f16 v105, v116, s7, v229
	v_add_f16_e32 v78, v80, v78
	v_add_f16_e32 v34, v47, v34
	;; [unrolled: 1-line block ×4, first 2 shown]
	v_fma_f16 v105, v126, s16, v230
	v_add_f16_e32 v76, v78, v76
	v_accvgpr_read_b32 v78, a2
	v_add_f16_e32 v34, v44, v34
	v_add_f16_e32 v35, v62, v35
	;; [unrolled: 1-line block ×3, first 2 shown]
	v_fma_f16 v105, v136, s19, v231
	v_add_f16_e32 v78, v78, v82
	v_add_f16_e32 v34, v45, v34
	;; [unrolled: 1-line block ×4, first 2 shown]
	v_fma_f16 v105, v146, s17, v232
	v_add_f16_e32 v76, v78, v76
	v_accvgpr_read_b32 v78, a4
	v_add_f16_e32 v34, v38, v34
	v_add_f16_e32 v35, v57, v35
	;; [unrolled: 1-line block ×3, first 2 shown]
	v_fma_f16 v105, v153, s6, v233
	v_sub_f16_e32 v88, v88, v179
	v_add_f16_e32 v78, v78, v87
	v_add_f16_e32 v34, v39, v34
	;; [unrolled: 1-line block ×3, first 2 shown]
	v_fma_f16 v100, v100, s20, -v217
	v_add_f16_e32 v95, v105, v95
	v_fma_f16 v105, v159, s18, v234
	v_sub_f16_e32 v99, v99, v181
	v_add_f16_e32 v88, v60, v88
	v_sub_f16_e32 v96, v96, v186
	v_add_f16_e32 v76, v78, v76
	v_accvgpr_read_b32 v78, a7
	v_add_f16_e32 v34, v48, v34
	v_add_f16_e32 v35, v67, v35
	v_mul_f16_e32 v194, 0xb461, v116
	v_mul_f16_e32 v174, 0x3bf7, v174
	v_add_f16_e32 v100, v60, v100
	v_fma_f16 v111, v111, s21, -v219
	v_add_f16_e32 v95, v105, v95
	v_add_f16_e32 v99, v60, v99
	v_sub_f16_e32 v105, v109, v188
	v_add_f16_e32 v104, v187, v104
	v_add_f16_e32 v88, v96, v88
	v_sub_f16_e32 v96, v106, v193
	v_add_f16_e32 v78, v78, v93
	v_add_f16_e32 v34, v49, v34
	;; [unrolled: 1-line block ×3, first 2 shown]
	v_mul_f16_e32 v202, 0x3b76, v126
	v_add_f16_e32 v184, v206, v184
	v_fma_f16 v206, v159, s17, -v174
	v_add_f16_e32 v100, v111, v100
	v_fma_f16 v111, v121, s7, -v220
	v_add_f16_e32 v99, v105, v99
	v_sub_f16_e32 v105, v119, v195
	v_add_f16_e32 v94, v104, v94
	v_add_f16_e32 v104, v194, v114
	;; [unrolled: 1-line block ×3, first 2 shown]
	v_sub_f16_e32 v96, v115, v201
	v_add_f16_e32 v76, v78, v76
	v_accvgpr_read_b32 v78, a9
	v_add_f16_e32 v34, v50, v34
	v_add_f16_e32 v35, v72, v35
	v_mul_f16_e32 v210, 0x3722, v136
	v_add_f16_e32 v184, v206, v184
	v_mul_f16_e32 v206, 0xb5c8, v169
	v_mul_f16_e32 v164, 0xbacd, v153
	v_fma_f16 v198, v161, s17, -v198
	v_add_f16_e32 v175, v182, v175
	v_fma_f16 v182, v116, s6, v247
	v_add_f16_e32 v100, v111, v100
	v_fma_f16 v111, v132, s16, -v221
	v_add_f16_e32 v99, v105, v99
	v_sub_f16_e32 v105, v129, v203
	v_add_f16_e32 v94, v104, v94
	v_add_f16_e32 v104, v202, v124
	;; [unrolled: 1-line block ×3, first 2 shown]
	v_sub_f16_e32 v96, v127, v209
	v_add_f16_e32 v78, v78, v103
	v_add_f16_e32 v34, v51, v34
	;; [unrolled: 1-line block ×3, first 2 shown]
	v_mul_f16_e32 v162, 0xbacd, v146
	v_mul_f16_e32 v169, 0xb836, v169
	v_add_f16_e32 v155, v198, v155
	v_mul_f16_e32 v198, 0xbbf7, v168
	v_mul_f16_e32 v163, 0xbbdd, v159
	v_fma_f16 v174, v159, s17, v174
	v_add_f16_e32 v175, v182, v175
	v_fma_f16 v182, v126, s21, v248
	v_add_f16_e32 v100, v111, v100
	v_fma_f16 v111, v142, s19, -v222
	v_add_f16_e32 v99, v105, v99
	v_sub_f16_e32 v105, v139, v211
	v_add_f16_e32 v94, v104, v94
	v_add_f16_e32 v104, v210, v133
	;; [unrolled: 1-line block ×3, first 2 shown]
	v_sub_f16_e32 v96, v134, v206
	v_add_f16_e32 v76, v78, v76
	v_add_f16_e32 v78, v164, v112
	;; [unrolled: 1-line block ×4, first 2 shown]
	v_mul_f16_e32 v158, 0xb8d2, v153
	v_mul_f16_e32 v168, 0x3a62, v168
	v_add_f16_e32 v150, v174, v150
	v_mul_f16_e32 v174, 0xb836, v170
	v_add_f16_e32 v175, v182, v175
	v_fma_f16 v182, v136, s17, v249
	v_add_f16_e32 v100, v111, v100
	v_fma_f16 v111, v149, s17, -v223
	v_add_f16_e32 v99, v105, v99
	v_sub_f16_e32 v105, v148, v169
	v_add_f16_e32 v94, v104, v94
	v_add_f16_e32 v104, v162, v144
	;; [unrolled: 1-line block ×3, first 2 shown]
	v_sub_f16_e32 v96, v145, v198
	v_add_f16_e32 v76, v78, v76
	v_add_f16_e32 v78, v163, v123
	;; [unrolled: 1-line block ×4, first 2 shown]
	v_mul_f16_e32 v255, 0x39e9, v159
	v_mul_f16_e32 v170, 0x3964, v170
	v_add_f16_e32 v175, v182, v175
	v_fma_f16 v182, v146, s7, v250
	v_add_f16_e32 v100, v111, v100
	v_fma_f16 v111, v156, s6, -v224
	v_add_f16_e32 v99, v105, v99
	v_sub_f16_e32 v105, v154, v168
	v_add_f16_e32 v94, v104, v94
	v_add_f16_e32 v104, v158, v151
	;; [unrolled: 1-line block ×3, first 2 shown]
	v_sub_f16_e32 v96, v152, v174
	v_add_f16_e32 v76, v78, v76
	v_add_f16_e32 v34, v70, v34
	;; [unrolled: 1-line block ×3, first 2 shown]
	v_mul_lo_u16_e32 v36, 17, v30
	v_add_f16_e32 v175, v182, v175
	v_fma_f16 v182, v153, s19, v251
	v_add_f16_e32 v100, v111, v100
	v_fma_f16 v111, v161, s18, -v225
	v_add_f16_e32 v99, v105, v99
	v_sub_f16_e32 v105, v160, v170
	v_add_f16_e32 v94, v104, v94
	v_add_f16_e32 v104, v255, v157
	;; [unrolled: 1-line block ×3, first 2 shown]
	v_lshlrev_b32_e32 v36, 2, v36
	v_pack_b32_f16 v37, v76, v77
	v_pack_b32_f16 v34, v34, v35
	v_add_f16_e32 v175, v182, v175
	v_fma_f16 v182, v159, s16, v252
	v_add_f16_e32 v100, v111, v100
	v_add_f16_e32 v99, v105, v99
	v_add_f16_e32 v94, v104, v94
	ds_write2_b32 v36, v34, v37 offset1:1
	v_pack_b32_f16 v34, v85, v88
	v_pack_b32_f16 v35, v79, v81
	v_add_f16_e32 v175, v182, v175
	ds_write2_b32 v36, v35, v34 offset0:2 offset1:3
	v_pack_b32_f16 v34, v94, v99
	v_pack_b32_f16 v35, v95, v100
	ds_write2_b32 v36, v34, v35 offset0:4 offset1:5
	v_pack_b32_f16 v34, v54, v140
	v_pack_b32_f16 v35, v175, v143
	;; [unrolled: 3-line block ×4, first 2 shown]
	ds_write2_b32 v36, v35, v34 offset0:10 offset1:11
	v_accvgpr_read_b32 v34, a5
	v_accvgpr_read_b32 v35, a14
	s_mov_b32 s6, 0x5040100
	v_pack_b32_f16 v34, v35, v34
	v_perm_b32 v35, v64, v42, s6
	ds_write2_b32 v36, v34, v35 offset0:12 offset1:13
	v_perm_b32 v34, v29, v40, s6
	v_perm_b32 v35, v63, v43, s6
	ds_write2_b32 v36, v35, v34 offset0:14 offset1:15
	v_perm_b32 v34, v61, v41, s6
	ds_write_b32 v36, v34 offset:64
.LBB0_17:
	s_or_b64 exec, exec, s[0:1]
	s_waitcnt lgkmcnt(0)
	s_barrier
	ds_read2_b32 v[36:37], v28 offset1:153
	v_add_u32_e32 v34, 0x400, v28
	ds_read2_b32 v[38:39], v34 offset0:50 offset1:203
	v_add_u32_e32 v34, 0x800, v28
	ds_read2_b32 v[44:45], v34 offset0:100 offset1:253
	s_waitcnt lgkmcnt(2)
	v_lshrrev_b32_e32 v35, 16, v37
	v_add_u32_e32 v34, 0xe00, v28
	ds_read2_b32 v[46:47], v34 offset0:22 offset1:175
	v_mul_f16_sdwa v67, v8, v35 dst_sel:DWORD dst_unused:UNUSED_PAD src0_sel:WORD_1 src1_sel:DWORD
	s_waitcnt lgkmcnt(2)
	v_lshrrev_b32_e32 v52, 16, v38
	v_add_u32_e32 v34, 0x1200, v28
	v_fma_f16 v67, v8, v37, v67
	v_mul_f16_sdwa v37, v8, v37 dst_sel:DWORD dst_unused:UNUSED_PAD src0_sel:WORD_1 src1_sel:DWORD
	v_lshrrev_b32_e32 v53, 16, v39
	ds_read2_b32 v[48:49], v34 offset0:72 offset1:225
	v_fma_f16 v8, v8, v35, -v37
	v_mul_f16_sdwa v35, v9, v52 dst_sel:DWORD dst_unused:UNUSED_PAD src0_sel:WORD_1 src1_sel:DWORD
	v_mul_f16_sdwa v37, v9, v38 dst_sel:DWORD dst_unused:UNUSED_PAD src0_sel:WORD_1 src1_sel:DWORD
	s_waitcnt lgkmcnt(2)
	v_lshrrev_b32_e32 v54, 16, v44
	v_add_u32_e32 v34, 0x1700, v28
	v_fma_f16 v35, v9, v38, v35
	v_fma_f16 v9, v9, v52, -v37
	v_mul_f16_sdwa v37, v10, v53 dst_sel:DWORD dst_unused:UNUSED_PAD src0_sel:WORD_1 src1_sel:DWORD
	v_mul_f16_sdwa v38, v10, v39 dst_sel:DWORD dst_unused:UNUSED_PAD src0_sel:WORD_1 src1_sel:DWORD
	v_lshrrev_b32_e32 v55, 16, v45
	ds_read2_b32 v[50:51], v34 offset0:58 offset1:211
	v_fma_f16 v37, v10, v39, v37
	v_fma_f16 v10, v10, v53, -v38
	v_mul_f16_sdwa v38, v11, v54 dst_sel:DWORD dst_unused:UNUSED_PAD src0_sel:WORD_1 src1_sel:DWORD
	v_mul_f16_sdwa v39, v11, v44 dst_sel:DWORD dst_unused:UNUSED_PAD src0_sel:WORD_1 src1_sel:DWORD
	s_waitcnt lgkmcnt(2)
	v_lshrrev_b32_e32 v56, 16, v46
	v_fma_f16 v38, v11, v44, v38
	v_fma_f16 v11, v11, v54, -v39
	v_mul_f16_sdwa v39, v12, v55 dst_sel:DWORD dst_unused:UNUSED_PAD src0_sel:WORD_1 src1_sel:DWORD
	v_mul_f16_sdwa v44, v12, v45 dst_sel:DWORD dst_unused:UNUSED_PAD src0_sel:WORD_1 src1_sel:DWORD
	v_lshrrev_b32_e32 v57, 16, v47
	ds_read_b32 v58, v28 offset:7344
	v_fma_f16 v39, v12, v45, v39
	v_fma_f16 v12, v12, v55, -v44
	v_mul_f16_sdwa v44, v13, v56 dst_sel:DWORD dst_unused:UNUSED_PAD src0_sel:WORD_1 src1_sel:DWORD
	v_mul_f16_sdwa v45, v13, v46 dst_sel:DWORD dst_unused:UNUSED_PAD src0_sel:WORD_1 src1_sel:DWORD
	s_waitcnt lgkmcnt(2)
	v_lshrrev_b32_e32 v59, 16, v48
	v_fma_f16 v44, v13, v46, v44
	v_fma_f16 v13, v13, v56, -v45
	v_mul_f16_sdwa v45, v14, v57 dst_sel:DWORD dst_unused:UNUSED_PAD src0_sel:WORD_1 src1_sel:DWORD
	v_mul_f16_sdwa v46, v14, v47 dst_sel:DWORD dst_unused:UNUSED_PAD src0_sel:WORD_1 src1_sel:DWORD
	v_lshrrev_b32_e32 v60, 16, v49
	v_fma_f16 v45, v14, v47, v45
	v_fma_f16 v14, v14, v57, -v46
	v_mul_f16_sdwa v46, v15, v59 dst_sel:DWORD dst_unused:UNUSED_PAD src0_sel:WORD_1 src1_sel:DWORD
	v_mul_f16_sdwa v47, v15, v48 dst_sel:DWORD dst_unused:UNUSED_PAD src0_sel:WORD_1 src1_sel:DWORD
	s_waitcnt lgkmcnt(1)
	v_lshrrev_b32_e32 v62, 16, v50
	v_fma_f16 v46, v15, v48, v46
	v_fma_f16 v15, v15, v59, -v47
	v_mul_f16_sdwa v47, v16, v60 dst_sel:DWORD dst_unused:UNUSED_PAD src0_sel:WORD_1 src1_sel:DWORD
	v_mul_f16_sdwa v48, v16, v49 dst_sel:DWORD dst_unused:UNUSED_PAD src0_sel:WORD_1 src1_sel:DWORD
	v_lshrrev_b32_e32 v65, 16, v51
	v_fma_f16 v47, v16, v49, v47
	v_fma_f16 v16, v16, v60, -v48
	v_mul_f16_sdwa v48, v17, v62 dst_sel:DWORD dst_unused:UNUSED_PAD src0_sel:WORD_1 src1_sel:DWORD
	v_mul_f16_sdwa v49, v17, v50 dst_sel:DWORD dst_unused:UNUSED_PAD src0_sel:WORD_1 src1_sel:DWORD
	s_waitcnt lgkmcnt(0)
	v_lshrrev_b32_e32 v66, 16, v58
	v_fma_f16 v48, v17, v50, v48
	v_fma_f16 v17, v17, v62, -v49
	v_mul_f16_sdwa v49, v18, v65 dst_sel:DWORD dst_unused:UNUSED_PAD src0_sel:WORD_1 src1_sel:DWORD
	v_mul_f16_sdwa v50, v18, v51 dst_sel:DWORD dst_unused:UNUSED_PAD src0_sel:WORD_1 src1_sel:DWORD
	v_fma_f16 v49, v18, v51, v49
	v_fma_f16 v18, v18, v65, -v50
	v_mul_f16_sdwa v50, v19, v66 dst_sel:DWORD dst_unused:UNUSED_PAD src0_sel:WORD_1 src1_sel:DWORD
	v_mul_f16_sdwa v51, v19, v58 dst_sel:DWORD dst_unused:UNUSED_PAD src0_sel:WORD_1 src1_sel:DWORD
	v_fma_f16 v50, v19, v58, v50
	v_fma_f16 v19, v19, v66, -v51
	v_add_f16_e32 v51, v36, v67
	v_add_f16_sdwa v52, v36, v8 dst_sel:DWORD dst_unused:UNUSED_PAD src0_sel:WORD_1 src1_sel:DWORD
	v_add_f16_e32 v51, v51, v35
	v_add_f16_e32 v52, v52, v9
	;; [unrolled: 1-line block ×21, first 2 shown]
	v_sub_f16_e32 v8, v8, v19
	v_add_f16_e32 v51, v51, v50
	v_add_f16_e32 v52, v52, v19
	;; [unrolled: 1-line block ×3, first 2 shown]
	v_sub_f16_e32 v50, v67, v50
	s_mov_b32 s18, 0xb770
	v_mul_f16_e32 v19, 0xb770, v8
	s_movk_i32 s19, 0x3b15
	v_mul_f16_e32 v56, 0x3b15, v54
	s_movk_i32 s20, 0x3770
	s_mov_b32 s7, 0xba95
	v_mul_f16_e32 v58, 0xba95, v8
	s_movk_i32 s16, 0x388b
	v_mul_f16_e32 v60, 0x388b, v54
	s_movk_i32 s17, 0x3a95
	;; [unrolled: 5-line block ×3, first 2 shown]
	s_mov_b32 s21, 0xbb7b
	v_mul_f16_e32 v69, 0xbb7b, v8
	s_mov_b32 s22, 0xb5ac
	v_mul_f16_e32 v71, 0xb5ac, v54
	s_movk_i32 s23, 0x3b7b
	s_mov_b32 s24, 0xb94e
	v_mul_f16_e32 v73, 0xb94e, v8
	s_mov_b32 s25, 0xb9fd
	v_mul_f16_e32 v75, 0xb9fd, v54
	s_movk_i32 s26, 0x394e
	;; [unrolled: 5-line block ×3, first 2 shown]
	v_fma_f16 v55, v53, s19, v19
	v_fma_f16 v57, v50, s20, v56
	v_fma_f16 v19, v53, s19, -v19
	v_fma_f16 v56, v50, s18, v56
	v_fma_f16 v59, v53, s16, v58
	v_fma_f16 v62, v50, s17, v60
	v_fma_f16 v58, v53, s16, -v58
	v_fma_f16 v60, v50, s7, v60
	;; [unrolled: 4-line block ×6, first 2 shown]
	v_add_f16_e32 v53, v9, v18
	v_sub_f16_e32 v9, v9, v18
	v_add_f16_e32 v55, v36, v55
	v_add_f16_sdwa v57, v36, v57 dst_sel:DWORD dst_unused:UNUSED_PAD src0_sel:WORD_1 src1_sel:DWORD
	v_add_f16_e32 v19, v36, v19
	v_add_f16_sdwa v56, v36, v56 dst_sel:DWORD dst_unused:UNUSED_PAD src0_sel:WORD_1 src1_sel:DWORD
	;; [unrolled: 2-line block ×12, first 2 shown]
	v_add_f16_e32 v50, v35, v49
	v_mul_f16_e32 v18, 0xba95, v9
	v_sub_f16_e32 v35, v35, v49
	v_fma_f16 v49, v50, s16, v18
	v_mul_f16_e32 v54, 0x388b, v53
	v_fma_f16 v18, v50, s16, -v18
	v_add_f16_e32 v49, v49, v55
	v_fma_f16 v55, v35, s17, v54
	v_add_f16_e32 v18, v18, v19
	v_fma_f16 v19, v35, s7, v54
	v_mul_f16_e32 v54, 0xbb7b, v9
	v_add_f16_e32 v55, v55, v57
	v_add_f16_e32 v19, v19, v56
	v_fma_f16 v56, v50, s22, v54
	v_mul_f16_e32 v57, 0xb5ac, v53
	v_fma_f16 v54, v50, s22, -v54
	v_add_f16_e32 v56, v56, v59
	v_fma_f16 v59, v35, s23, v57
	v_add_f16_e32 v54, v54, v58
	v_fma_f16 v57, v35, s21, v57
	v_mul_f16_e32 v58, 0xb3a8, v9
	v_add_f16_e32 v59, v59, v62
	v_add_f16_e32 v57, v57, v60
	;; [unrolled: 10-line block ×3, first 2 shown]
	v_fma_f16 v67, v50, s25, v65
	v_mul_f16_e32 v68, 0xb9fd, v53
	v_fma_f16 v65, v50, s25, -v65
	v_add_f16_e32 v67, v67, v70
	v_fma_f16 v70, v35, s24, v68
	v_add_f16_e32 v65, v65, v69
	v_fma_f16 v68, v35, s26, v68
	v_mul_f16_e32 v69, 0x3bf1, v9
	v_add_f16_e32 v68, v68, v71
	v_fma_f16 v71, v50, s1, v69
	v_fma_f16 v69, v50, s1, -v69
	v_mul_f16_e32 v9, 0x3770, v9
	v_add_f16_e32 v70, v70, v72
	v_mul_f16_e32 v72, 0x2fb7, v53
	v_add_f16_e32 v69, v69, v73
	v_fma_f16 v73, v50, s19, v9
	v_mul_f16_e32 v53, 0x3b15, v53
	v_fma_f16 v9, v50, s19, -v9
	v_add_f16_e32 v8, v9, v8
	v_fma_f16 v9, v35, s20, v53
	v_add_f16_e32 v71, v71, v74
	v_fma_f16 v74, v35, s0, v72
	v_fma_f16 v72, v35, s6, v72
	v_add_f16_e32 v9, v9, v36
	v_add_f16_e32 v36, v10, v17
	v_sub_f16_e32 v10, v10, v17
	v_add_f16_e32 v72, v72, v75
	v_fma_f16 v75, v35, s18, v53
	v_add_f16_e32 v35, v37, v48
	v_mul_f16_e32 v17, 0xbbf1, v10
	v_sub_f16_e32 v37, v37, v48
	v_fma_f16 v48, v35, s1, v17
	v_add_f16_e32 v48, v48, v49
	v_mul_f16_e32 v49, 0x2fb7, v36
	v_fma_f16 v17, v35, s1, -v17
	v_add_f16_e32 v17, v17, v18
	v_fma_f16 v18, v37, s0, v49
	v_add_f16_e32 v18, v18, v19
	v_mul_f16_e32 v19, 0xb3a8, v10
	v_fma_f16 v50, v37, s6, v49
	v_fma_f16 v49, v35, s28, v19
	v_fma_f16 v19, v35, s28, -v19
	v_mul_f16_e32 v53, 0xbbc4, v36
	v_add_f16_e32 v19, v19, v54
	v_mul_f16_e32 v54, 0x3b7b, v10
	v_add_f16_e32 v50, v50, v55
	v_add_f16_e32 v49, v49, v56
	v_fma_f16 v55, v37, s29, v53
	v_fma_f16 v53, v37, s27, v53
	;; [unrolled: 1-line block ×3, first 2 shown]
	v_fma_f16 v54, v35, s22, -v54
	v_add_f16_e32 v53, v53, v57
	v_mul_f16_e32 v57, 0xb5ac, v36
	v_add_f16_e32 v54, v54, v58
	v_mul_f16_e32 v58, 0x3770, v10
	v_add_f16_e32 v55, v55, v59
	v_add_f16_e32 v56, v56, v60
	v_fma_f16 v59, v37, s21, v57
	v_fma_f16 v57, v37, s23, v57
	;; [unrolled: 1-line block ×3, first 2 shown]
	v_fma_f16 v58, v35, s19, -v58
	v_add_f16_e32 v57, v57, v62
	v_mul_f16_e32 v62, 0x3b15, v36
	v_add_f16_e32 v58, v58, v65
	v_mul_f16_e32 v65, 0xba95, v10
	v_add_f16_e32 v59, v59, v66
	v_add_f16_e32 v60, v60, v67
	v_fma_f16 v66, v37, s18, v62
	v_fma_f16 v62, v37, s20, v62
	;; [unrolled: 1-line block ×3, first 2 shown]
	v_fma_f16 v65, v35, s16, -v65
	v_mul_f16_e32 v10, 0xb94e, v10
	v_add_f16_e32 v62, v62, v68
	v_mul_f16_e32 v68, 0x388b, v36
	v_add_f16_e32 v65, v65, v69
	v_fma_f16 v69, v35, s25, v10
	v_mul_f16_e32 v36, 0xb9fd, v36
	v_fma_f16 v10, v35, s25, -v10
	v_add_f16_e32 v8, v10, v8
	v_fma_f16 v10, v37, s24, v36
	v_add_f16_e32 v35, v11, v16
	v_sub_f16_e32 v11, v11, v16
	v_add_f16_e32 v9, v10, v9
	v_add_f16_e32 v10, v38, v47
	v_mul_f16_e32 v16, 0xbb7b, v11
	v_add_f16_e32 v66, v66, v70
	v_add_f16_e32 v67, v67, v71
	v_fma_f16 v70, v37, s17, v68
	v_fma_f16 v68, v37, s7, v68
	;; [unrolled: 1-line block ×3, first 2 shown]
	v_sub_f16_e32 v36, v38, v47
	v_fma_f16 v37, v10, s22, v16
	v_mul_f16_e32 v38, 0xb5ac, v35
	v_fma_f16 v16, v10, s22, -v16
	v_add_f16_e32 v16, v16, v17
	v_fma_f16 v17, v36, s21, v38
	v_add_f16_e32 v17, v17, v18
	v_mul_f16_e32 v18, 0x394e, v11
	v_add_f16_e32 v37, v37, v48
	v_fma_f16 v47, v36, s23, v38
	v_fma_f16 v38, v10, s25, v18
	v_mul_f16_e32 v48, 0xb9fd, v35
	v_fma_f16 v18, v10, s25, -v18
	v_add_f16_e32 v38, v38, v49
	v_fma_f16 v49, v36, s24, v48
	v_add_f16_e32 v18, v18, v19
	v_fma_f16 v19, v36, s26, v48
	v_mul_f16_e32 v48, 0x3770, v11
	v_add_f16_e32 v47, v47, v50
	v_fma_f16 v50, v10, s19, v48
	v_fma_f16 v48, v10, s19, -v48
	v_add_f16_e32 v19, v19, v53
	v_mul_f16_e32 v53, 0x3b15, v35
	v_add_f16_e32 v48, v48, v54
	v_mul_f16_e32 v54, 0xbbf1, v11
	v_add_f16_e32 v49, v49, v55
	v_add_f16_e32 v50, v50, v56
	v_fma_f16 v55, v36, s18, v53
	v_fma_f16 v53, v36, s20, v53
	;; [unrolled: 1-line block ×3, first 2 shown]
	v_fma_f16 v54, v10, s1, -v54
	v_add_f16_e32 v53, v53, v57
	v_mul_f16_e32 v57, 0x2fb7, v35
	v_add_f16_e32 v54, v54, v58
	v_mul_f16_e32 v58, 0x33a8, v11
	v_add_f16_e32 v55, v55, v59
	v_add_f16_e32 v56, v56, v60
	v_fma_f16 v59, v36, s6, v57
	v_fma_f16 v57, v36, s0, v57
	;; [unrolled: 1-line block ×3, first 2 shown]
	v_fma_f16 v58, v10, s28, -v58
	v_mul_f16_e32 v11, 0x3a95, v11
	v_add_f16_e32 v57, v57, v62
	v_mul_f16_e32 v62, 0xbbc4, v35
	v_add_f16_e32 v58, v58, v65
	v_fma_f16 v65, v10, s16, v11
	v_mul_f16_e32 v35, 0x388b, v35
	v_fma_f16 v10, v10, s16, -v11
	v_add_f16_e32 v8, v10, v8
	v_fma_f16 v10, v36, s17, v35
	v_add_f16_e32 v11, v12, v15
	v_sub_f16_e32 v12, v12, v15
	v_add_f16_e32 v9, v10, v9
	v_add_f16_e32 v10, v39, v46
	v_mul_f16_e32 v15, 0xb94e, v12
	v_add_f16_e32 v59, v59, v66
	v_add_f16_e32 v60, v60, v67
	v_fma_f16 v66, v36, s27, v62
	v_fma_f16 v62, v36, s29, v62
	;; [unrolled: 1-line block ×4, first 2 shown]
	v_sub_f16_e32 v35, v39, v46
	v_add_f16_e32 v36, v36, v37
	v_mul_f16_e32 v37, 0xb9fd, v11
	v_fma_f16 v15, v10, s25, -v15
	v_add_f16_e32 v15, v15, v16
	v_fma_f16 v16, v35, s24, v37
	v_add_f16_e32 v16, v16, v17
	v_mul_f16_e32 v17, 0x3bf1, v12
	v_fma_f16 v39, v35, s26, v37
	v_fma_f16 v37, v10, s1, v17
	v_add_f16_e32 v37, v37, v38
	v_mul_f16_e32 v38, 0x2fb7, v11
	v_fma_f16 v17, v10, s1, -v17
	v_add_f16_e32 v17, v17, v18
	v_fma_f16 v18, v35, s6, v38
	v_add_f16_e32 v18, v18, v19
	v_mul_f16_e32 v19, 0xba95, v12
	v_fma_f16 v46, v35, s0, v38
	v_fma_f16 v38, v10, s16, v19
	v_add_f16_e32 v39, v39, v47
	v_add_f16_e32 v47, v38, v50
	v_mul_f16_e32 v38, 0x388b, v11
	v_add_f16_e32 v46, v46, v49
	v_fma_f16 v49, v35, s17, v38
	v_fma_f16 v19, v10, s16, -v19
	v_fma_f16 v38, v35, s7, v38
	v_add_f16_e32 v19, v19, v48
	v_add_f16_e32 v48, v38, v53
	v_mul_f16_e32 v38, 0x33a8, v12
	v_fma_f16 v50, v10, s28, v38
	v_mul_f16_e32 v53, 0xbbc4, v11
	v_fma_f16 v38, v10, s28, -v38
	v_add_f16_e32 v54, v38, v54
	v_fma_f16 v38, v35, s29, v53
	v_add_f16_e32 v49, v49, v55
	v_fma_f16 v55, v35, s27, v53
	v_add_f16_e32 v53, v38, v57
	v_mul_f16_e32 v38, 0x3770, v12
	v_add_f16_e32 v73, v73, v77
	v_add_f16_e32 v68, v68, v72
	;; [unrolled: 1-line block ×3, first 2 shown]
	v_fma_f16 v56, v10, s19, v38
	v_mul_f16_e32 v57, 0x3b15, v11
	v_fma_f16 v38, v10, s19, -v38
	v_add_f16_e32 v75, v75, v78
	v_add_f16_e32 v69, v69, v73
	;; [unrolled: 1-line block ×4, first 2 shown]
	v_fma_f16 v38, v35, s20, v57
	v_mul_f16_e32 v12, 0xbb7b, v12
	v_add_f16_e32 v74, v74, v76
	v_add_f16_e32 v71, v71, v75
	;; [unrolled: 1-line block ×4, first 2 shown]
	v_fma_f16 v59, v35, s18, v57
	v_add_f16_e32 v57, v38, v62
	v_fma_f16 v38, v10, s22, v12
	v_mul_f16_e32 v11, 0xb5ac, v11
	v_add_f16_e32 v70, v70, v74
	v_add_f16_e32 v67, v67, v71
	;; [unrolled: 1-line block ×4, first 2 shown]
	v_fma_f16 v38, v35, s23, v11
	v_fma_f16 v10, v10, s22, -v12
	v_add_f16_e32 v66, v66, v70
	v_add_f16_e32 v62, v38, v67
	;; [unrolled: 1-line block ×3, first 2 shown]
	v_fma_f16 v8, v35, s21, v11
	v_add_f16_e32 v67, v13, v14
	v_sub_f16_e32 v13, v13, v14
	v_add_f16_e32 v59, v59, v66
	v_add_f16_e32 v65, v8, v9
	v_add_f16_e32 v66, v44, v45
	v_mul_f16_e32 v8, 0xb3a8, v13
	v_fma_f16 v9, v66, s28, v8
	v_sub_f16_e32 v44, v44, v45
	v_add_f16_e32 v14, v9, v36
	v_mul_f16_e32 v9, 0xbbc4, v67
	v_fma_f16 v8, v66, s28, -v8
	v_add_f16_e32 v11, v8, v15
	v_fma_f16 v8, v44, s27, v9
	v_add_f16_e32 v36, v8, v16
	v_mul_f16_e32 v8, 0x3770, v13
	v_fma_f16 v10, v44, s29, v9
	v_fma_f16 v9, v66, s19, v8
	v_add_f16_e32 v15, v9, v37
	v_mul_f16_e32 v9, 0x3b15, v67
	v_add_f16_e32 v39, v10, v39
	v_fma_f16 v10, v44, s18, v9
	v_fma_f16 v8, v66, s19, -v8
	v_add_f16_e32 v16, v10, v46
	v_add_f16_e32 v10, v8, v17
	v_fma_f16 v8, v44, s20, v9
	v_add_f16_e32 v38, v8, v18
	v_mul_f16_e32 v8, 0xb94e, v13
	v_fma_f16 v9, v66, s25, v8
	v_mul_f16_e32 v18, 0xb9fd, v67
	v_add_f16_e32 v17, v9, v47
	v_fma_f16 v9, v44, s26, v18
	v_fma_f16 v8, v66, s25, -v8
	v_add_f16_e32 v45, v9, v49
	v_add_f16_e32 v9, v8, v19
	v_fma_f16 v8, v44, s24, v18
	v_mul_f16_e32 v19, 0x388b, v67
	v_add_f16_e32 v37, v8, v48
	v_mul_f16_e32 v8, 0x3a95, v13
	v_fma_f16 v35, v44, s7, v19
	v_fma_f16 v19, v44, s17, v19
	;; [unrolled: 1-line block ×3, first 2 shown]
	v_add_f16_e32 v46, v35, v55
	v_add_f16_e32 v35, v19, v53
	v_mul_f16_e32 v19, 0xbb7b, v13
	v_mul_f16_e32 v13, 0x3bf1, v13
	v_add_f16_e32 v18, v18, v50
	v_fma_f16 v8, v66, s16, -v8
	v_mul_f16_e32 v48, 0xb5ac, v67
	v_fma_f16 v50, v66, s1, v13
	v_mul_f16_e32 v53, 0x2fb7, v67
	v_fma_f16 v13, v66, s1, -v13
	v_add_f16_e32 v8, v8, v54
	v_fma_f16 v47, v66, s22, v19
	v_fma_f16 v49, v44, s23, v48
	;; [unrolled: 1-line block ×4, first 2 shown]
	v_add_f16_e32 v12, v13, v12
	v_fma_f16 v13, v44, s6, v53
	v_pack_b32_f16 v44, v51, v52
	v_pack_b32_f16 v14, v14, v39
	v_add_f16_e32 v47, v47, v56
	v_add_f16_e32 v49, v49, v59
	s_barrier
	ds_write2_b32 v33, v44, v14 offset1:17
	v_pack_b32_f16 v14, v15, v16
	v_pack_b32_f16 v15, v17, v45
	v_fma_f16 v19, v66, s22, -v19
	v_add_f16_e32 v50, v50, v60
	v_add_f16_e32 v54, v54, v62
	;; [unrolled: 1-line block ×3, first 2 shown]
	ds_write2_b32 v33, v14, v15 offset0:34 offset1:51
	v_pack_b32_f16 v14, v18, v46
	v_pack_b32_f16 v15, v47, v49
	v_add_f16_e32 v19, v19, v58
	v_add_f16_e32 v48, v48, v57
	ds_write2_b32 v33, v14, v15 offset0:68 offset1:85
	v_pack_b32_f16 v14, v50, v54
	v_pack_b32_f16 v12, v12, v13
	ds_write2_b32 v33, v14, v12 offset0:102 offset1:119
	v_pack_b32_f16 v12, v19, v48
	v_pack_b32_f16 v13, v8, v35
	;; [unrolled: 3-line block ×3, first 2 shown]
	ds_write2_b32 v33, v12, v13 offset0:170 offset1:187
	v_pack_b32_f16 v12, v11, v36
	ds_write_b32 v33, v12 offset:816
	v_add_u32_e32 v33, 0x680, v28
	v_add_u32_e32 v39, 0xd80, v28
	v_add_u32_e32 v44, 0x1480, v28
	s_waitcnt lgkmcnt(0)
	s_barrier
	ds_read2_b32 v[12:13], v28 offset1:221
	ds_read2_b32 v[18:19], v33 offset0:26 offset1:247
	ds_read2_b32 v[16:17], v39 offset0:20 offset1:241
	;; [unrolled: 1-line block ×3, first 2 shown]
	ds_read_b32 v45, v28 offset:7072
	s_and_saveexec_b64 s[0:1], s[2:3]
	s_cbranch_execz .LBB0_19
; %bb.18:
	v_add_u32_e32 v8, 0x200, v28
	v_add_u32_e32 v10, 0x900, v28
	;; [unrolled: 1-line block ×3, first 2 shown]
	ds_read2_b32 v[8:9], v8 offset0:25 offset1:246
	ds_read2_b32 v[10:11], v10 offset0:19 offset1:240
	;; [unrolled: 1-line block ×4, first 2 shown]
	ds_read_b32 v31, v28 offset:7684
	s_waitcnt lgkmcnt(4)
	v_lshrrev_b32_e32 v35, 16, v8
	v_lshrrev_b32_e32 v37, 16, v9
	s_waitcnt lgkmcnt(3)
	v_lshrrev_b32_e32 v38, 16, v10
	v_lshrrev_b32_e32 v36, 16, v11
	;; [unrolled: 3-line block ×4, first 2 shown]
	s_waitcnt lgkmcnt(0)
	v_lshrrev_b32_e32 v189, 16, v31
.LBB0_19:
	s_or_b64 exec, exec, s[0:1]
	s_waitcnt lgkmcnt(4)
	v_lshrrev_b32_e32 v46, 16, v13
	v_mul_f16_sdwa v54, v20, v46 dst_sel:DWORD dst_unused:UNUSED_PAD src0_sel:WORD_1 src1_sel:DWORD
	s_waitcnt lgkmcnt(3)
	v_lshrrev_b32_e32 v47, 16, v18
	v_fma_f16 v54, v20, v13, v54
	v_mul_f16_sdwa v13, v20, v13 dst_sel:DWORD dst_unused:UNUSED_PAD src0_sel:WORD_1 src1_sel:DWORD
	v_fma_f16 v13, v20, v46, -v13
	v_mul_f16_sdwa v20, v21, v47 dst_sel:DWORD dst_unused:UNUSED_PAD src0_sel:WORD_1 src1_sel:DWORD
	v_lshrrev_b32_e32 v48, 16, v19
	v_fma_f16 v20, v21, v18, v20
	v_mul_f16_sdwa v18, v21, v18 dst_sel:DWORD dst_unused:UNUSED_PAD src0_sel:WORD_1 src1_sel:DWORD
	v_fma_f16 v18, v21, v47, -v18
	v_mul_f16_sdwa v21, v22, v48 dst_sel:DWORD dst_unused:UNUSED_PAD src0_sel:WORD_1 src1_sel:DWORD
	s_waitcnt lgkmcnt(2)
	v_lshrrev_b32_e32 v49, 16, v16
	v_fma_f16 v21, v22, v19, v21
	v_mul_f16_sdwa v19, v22, v19 dst_sel:DWORD dst_unused:UNUSED_PAD src0_sel:WORD_1 src1_sel:DWORD
	v_fma_f16 v19, v22, v48, -v19
	v_mul_f16_sdwa v22, v23, v49 dst_sel:DWORD dst_unused:UNUSED_PAD src0_sel:WORD_1 src1_sel:DWORD
	v_lshrrev_b32_e32 v50, 16, v17
	v_fma_f16 v22, v23, v16, v22
	v_mul_f16_sdwa v16, v23, v16 dst_sel:DWORD dst_unused:UNUSED_PAD src0_sel:WORD_1 src1_sel:DWORD
	v_fma_f16 v16, v23, v49, -v16
	;; [unrolled: 11-line block ×3, first 2 shown]
	v_mul_f16_sdwa v25, v26, v52 dst_sel:DWORD dst_unused:UNUSED_PAD src0_sel:WORD_1 src1_sel:DWORD
	s_waitcnt lgkmcnt(0)
	v_lshrrev_b32_e32 v53, 16, v45
	v_fma_f16 v25, v26, v15, v25
	v_mul_f16_sdwa v15, v26, v15 dst_sel:DWORD dst_unused:UNUSED_PAD src0_sel:WORD_1 src1_sel:DWORD
	v_fma_f16 v15, v26, v52, -v15
	v_mul_f16_sdwa v26, v27, v53 dst_sel:DWORD dst_unused:UNUSED_PAD src0_sel:WORD_1 src1_sel:DWORD
	v_fma_f16 v26, v27, v45, v26
	v_mul_f16_sdwa v45, v27, v45 dst_sel:DWORD dst_unused:UNUSED_PAD src0_sel:WORD_1 src1_sel:DWORD
	v_fma_f16 v27, v27, v53, -v45
	v_add_f16_e32 v46, v13, v27
	v_sub_f16_e32 v13, v13, v27
	v_add_f16_e32 v45, v54, v26
	v_add_f16_e32 v47, v20, v25
	;; [unrolled: 1-line block ×4, first 2 shown]
	v_sub_f16_e32 v26, v54, v26
	v_sub_f16_e32 v20, v20, v25
	;; [unrolled: 1-line block ×4, first 2 shown]
	v_mul_f16_e32 v21, 0x3924, v13
	s_movk_i32 s6, 0x3be1
	v_sub_f16_e32 v25, v16, v17
	v_add_f16_e32 v50, v19, v14
	v_sub_f16_e32 v14, v19, v14
	v_mul_f16_e32 v19, 0x3924, v26
	v_fma_f16 v21, v15, s6, v21
	s_movk_i32 s7, 0x3aee
	v_sub_f16_e32 v24, v22, v23
	v_mul_f16_e32 v55, 0xb924, v25
	v_fma_f16 v19, v20, s6, v19
	v_fma_f16 v21, v14, s7, v21
	s_movk_i32 s16, 0x3579
	v_mul_f16_e32 v54, 0xb924, v24
	v_fma_f16 v55, v13, s6, v55
	s_mov_b32 s20, 0xbaee
	v_fma_f16 v19, v18, s7, v19
	v_fma_f16 v21, v25, s16, v21
	s_mov_b32 s21, 0xb924
	v_fma_f16 v54, v26, s6, v54
	v_fma_f16 v55, v14, s20, v55
	v_add_f16_e32 v59, v25, v13
	v_mul_f16_e32 v25, 0x3be1, v25
	v_fma_f16 v19, v24, s16, v19
	v_fma_f16 v54, v18, s20, v54
	v_fma_f16 v55, v15, s16, v55
	v_add_f16_e32 v58, v24, v26
	v_sub_f16_e32 v59, v59, v15
	v_mul_f16_e32 v24, 0x3be1, v24
	v_fma_f16 v15, v15, s21, -v25
	v_fma_f16 v54, v20, s16, v54
	v_sub_f16_e32 v58, v58, v20
	v_add_f16_e32 v67, v47, v45
	v_fma_f16 v20, v20, s21, -v24
	v_fma_f16 v14, v14, s7, v15
	v_add_f16_e32 v68, v48, v46
	v_fma_f16 v18, v18, s7, v20
	v_fma_f16 v13, v13, s16, v14
	v_add_f16_e32 v14, v49, v67
	v_fma_f16 v15, v26, s16, v18
	v_add_f16_e32 v18, v50, v68
	v_add_f16_e32 v14, v22, v14
	v_lshrrev_b32_e32 v34, 16, v12
	s_movk_i32 s17, 0x3a21
	v_add_f16_e32 v52, v22, v23
	v_add_f16_e32 v53, v16, v17
	;; [unrolled: 1-line block ×4, first 2 shown]
	v_fma_f16 v27, v45, s17, v12
	s_movk_i32 s18, 0x318f
	v_fma_f16 v56, v52, s17, v12
	v_add_f16_e32 v65, v49, v12
	v_add_f16_e32 v16, v17, v16
	;; [unrolled: 1-line block ×3, first 2 shown]
	v_fma_f16 v12, v47, s17, v12
	v_fma_f16 v17, v48, s17, v34
	;; [unrolled: 1-line block ×6, first 2 shown]
	s_mov_b32 s19, 0xbb84
	v_fma_f16 v56, v45, s18, v56
	v_fma_f16 v57, v46, s18, v57
	v_fma_f16 v12, v49, -0.5, v12
	v_fma_f16 v17, v50, -0.5, v17
	v_fma_f16 v27, v47, s18, v27
	v_fma_f16 v51, v48, s18, v51
	v_fma_f16 v56, v49, -0.5, v56
	v_fma_f16 v57, v50, -0.5, v57
	v_add_f16_e32 v66, v50, v34
	v_add_f16_e32 v69, v52, v67
	;; [unrolled: 1-line block ×3, first 2 shown]
	v_fma_f16 v12, v45, s19, v12
	v_fma_f16 v17, v46, s19, v17
	v_fma_f16 v27, v49, -0.5, v27
	v_fma_f16 v51, v50, -0.5, v51
	v_fma_f16 v56, v47, s19, v56
	v_fma_f16 v57, v48, s19, v57
	v_fma_f16 v65, v69, -0.5, v65
	v_fma_f16 v66, v70, -0.5, v66
	v_sub_f16_e32 v12, v12, v13
	v_add_f16_e32 v17, v15, v17
	v_fma_f16 v27, v52, s19, v27
	v_fma_f16 v51, v53, s19, v51
	v_sub_f16_e32 v56, v56, v55
	v_add_f16_e32 v57, v54, v57
	v_mul_f16_e32 v60, 0x3aee, v58
	v_mul_f16_e32 v62, 0x3aee, v59
	v_fma_f16 v59, v59, s20, v65
	v_fma_f16 v58, v58, s7, v66
	v_fma_f16 v13, v13, 2.0, v12
	v_fma_f16 v15, v15, -2.0, v17
	v_sub_f16_e32 v27, v27, v21
	v_add_f16_e32 v51, v19, v51
	v_fma_f16 v55, v55, 2.0, v56
	v_fma_f16 v54, v54, -2.0, v57
	v_fma_f16 v62, v62, 2.0, v59
	v_fma_f16 v60, v60, -2.0, v58
	v_add_f16_e32 v16, v16, v34
	v_pack_b32_f16 v12, v12, v17
	v_pack_b32_f16 v13, v13, v15
	v_fma_f16 v21, v21, 2.0, v27
	v_fma_f16 v19, v19, -2.0, v51
	v_pack_b32_f16 v14, v14, v16
	v_pack_b32_f16 v16, v27, v51
	ds_write2_b32 v39, v12, v13 offset0:20 offset1:241
	v_pack_b32_f16 v12, v62, v60
	v_pack_b32_f16 v13, v55, v54
	ds_write2_b32 v28, v14, v16 offset1:221
	v_pack_b32_f16 v14, v56, v57
	v_pack_b32_f16 v16, v59, v58
	ds_write2_b32 v44, v12, v13 offset0:14 offset1:235
	v_pack_b32_f16 v12, v21, v19
	ds_write2_b32 v33, v14, v16 offset0:26 offset1:247
	ds_write_b32 v28, v12 offset:7072
	s_and_saveexec_b64 s[0:1], s[2:3]
	s_cbranch_execz .LBB0_21
; %bb.20:
	v_mul_f16_sdwa v16, v5, v40 dst_sel:DWORD dst_unused:UNUSED_PAD src0_sel:WORD_1 src1_sel:DWORD
	v_mul_f16_sdwa v27, v5, v29 dst_sel:DWORD dst_unused:UNUSED_PAD src0_sel:WORD_1 src1_sel:DWORD
	;; [unrolled: 1-line block ×3, first 2 shown]
	v_fma_f16 v16, v5, v29, -v16
	v_fma_f16 v5, v5, v40, v27
	v_mul_f16_sdwa v27, v2, v36 dst_sel:DWORD dst_unused:UNUSED_PAD src0_sel:WORD_1 src1_sel:DWORD
	v_mul_f16_sdwa v13, v7, v31 dst_sel:DWORD dst_unused:UNUSED_PAD src0_sel:WORD_1 src1_sel:DWORD
	v_fma_f16 v15, v2, v36, -v15
	v_fma_f16 v2, v2, v11, v27
	v_mul_f16_sdwa v27, v7, v189 dst_sel:DWORD dst_unused:UNUSED_PAD src0_sel:WORD_1 src1_sel:DWORD
	v_mul_f16_sdwa v12, v0, v9 dst_sel:DWORD dst_unused:UNUSED_PAD src0_sel:WORD_1 src1_sel:DWORD
	v_fma_f16 v13, v7, v189, -v13
	v_mul_f16_sdwa v18, v1, v10 dst_sel:DWORD dst_unused:UNUSED_PAD src0_sel:WORD_1 src1_sel:DWORD
	v_mul_f16_sdwa v19, v6, v41 dst_sel:DWORD dst_unused:UNUSED_PAD src0_sel:WORD_1 src1_sel:DWORD
	v_fma_f16 v7, v7, v31, v27
	v_mul_f16_sdwa v27, v0, v37 dst_sel:DWORD dst_unused:UNUSED_PAD src0_sel:WORD_1 src1_sel:DWORD
	v_fma_f16 v12, v0, v37, -v12
	v_fma_f16 v18, v1, v38, -v18
	;; [unrolled: 1-line block ×3, first 2 shown]
	v_mul_f16_sdwa v21, v3, v42 dst_sel:DWORD dst_unused:UNUSED_PAD src0_sel:WORD_1 src1_sel:DWORD
	v_mul_f16_sdwa v22, v4, v43 dst_sel:DWORD dst_unused:UNUSED_PAD src0_sel:WORD_1 src1_sel:DWORD
	v_fma_f16 v0, v0, v9, v27
	v_fma_f16 v21, v3, v64, -v21
	v_fma_f16 v22, v4, v63, -v22
	v_add_f16_e32 v9, v7, v0
	v_sub_f16_e32 v0, v0, v7
	v_add_f16_e32 v7, v19, v18
	v_sub_f16_e32 v20, v18, v19
	v_fma_f16 v18, v7, s17, v35
	v_add_f16_e32 v19, v22, v21
	v_sub_f16_e32 v17, v15, v16
	v_mul_f16_sdwa v25, v6, v61 dst_sel:DWORD dst_unused:UNUSED_PAD src0_sel:WORD_1 src1_sel:DWORD
	v_fma_f16 v18, v19, s18, v18
	v_add_f16_e32 v15, v16, v15
	v_sub_f16_e32 v14, v12, v13
	v_fma_f16 v6, v6, v41, v25
	v_mul_f16_sdwa v25, v1, v38 dst_sel:DWORD dst_unused:UNUSED_PAD src0_sel:WORD_1 src1_sel:DWORD
	v_fma_f16 v16, v15, -0.5, v18
	v_add_f16_e32 v12, v13, v12
	v_fma_f16 v1, v1, v10, v25
	v_fma_f16 v13, v12, s19, v16
	v_add_f16_e32 v16, v7, v12
	v_add_f16_e32 v10, v6, v1
	v_mul_f16_sdwa v26, v4, v63 dst_sel:DWORD dst_unused:UNUSED_PAD src0_sel:WORD_1 src1_sel:DWORD
	v_add_f16_e32 v18, v15, v16
	v_sub_f16_e32 v23, v21, v22
	v_fma_f16 v4, v4, v43, v26
	v_mul_f16_sdwa v26, v3, v64 dst_sel:DWORD dst_unused:UNUSED_PAD src0_sel:WORD_1 src1_sel:DWORD
	v_add_f16_e32 v11, v5, v2
	v_add_f16_e32 v18, v21, v18
	;; [unrolled: 1-line block ×3, first 2 shown]
	v_fma_f16 v3, v3, v42, v26
	v_add_f16_e32 v18, v22, v18
	v_add_f16_e32 v22, v11, v21
	;; [unrolled: 1-line block ×3, first 2 shown]
	v_sub_f16_e32 v2, v2, v5
	v_sub_f16_e32 v5, v3, v4
	v_add_f16_e32 v3, v3, v22
	v_add_f16_e32 v3, v4, v3
	;; [unrolled: 1-line block ×4, first 2 shown]
	v_fma_f16 v4, v21, -0.5, v4
	v_add_f16_e32 v21, v23, v14
	v_sub_f16_e32 v1, v1, v6
	v_mul_f16_e32 v6, 0x3be1, v5
	v_sub_f16_e32 v21, v21, v20
	v_fma_f16 v25, v10, s17, v8
	v_fma_f16 v6, v1, s21, -v6
	v_mul_f16_e32 v22, 0x3aee, v21
	v_fma_f16 v4, v21, s20, v4
	v_mul_f16_e32 v31, 0xb924, v5
	v_fma_f16 v25, v26, s18, v25
	v_fma_f16 v6, v2, s7, v6
	v_fma_f16 v21, v22, 2.0, v4
	v_add_f16_e32 v22, v5, v0
	v_add_f16_e32 v29, v15, v35
	;; [unrolled: 1-line block ×3, first 2 shown]
	v_fma_f16 v31, v0, s6, v31
	v_fma_f16 v25, v11, -0.5, v25
	v_fma_f16 v6, v0, s16, v6
	v_sub_f16_e32 v22, v22, v1
	v_fma_f16 v16, v16, -0.5, v29
	v_fma_f16 v29, v26, s17, v8
	v_fma_f16 v31, v2, s20, v31
	v_mul_f16_e32 v0, 0x3924, v0
	v_fma_f16 v25, v9, s19, v25
	v_add_f16_e32 v3, v8, v3
	v_mul_f16_e32 v27, 0x3aee, v22
	v_fma_f16 v16, v22, s7, v16
	v_fma_f16 v29, v9, s18, v29
	;; [unrolled: 1-line block ×4, first 2 shown]
	v_mul_f16_e32 v9, 0x3924, v14
	v_fma_f16 v0, v1, s6, v0
	v_fma_f16 v1, v12, s17, v35
	v_mul_f16_e32 v24, 0x3be1, v23
	v_fma_f16 v22, v27, -2.0, v16
	v_mul_f16_e32 v27, 0xb924, v23
	v_fma_f16 v33, v19, s17, v35
	v_fma_f16 v8, v10, s18, v8
	;; [unrolled: 1-line block ×4, first 2 shown]
	v_fma_f16 v24, v20, s21, -v24
	v_fma_f16 v27, v14, s6, v27
	v_fma_f16 v33, v12, s18, v33
	v_fma_f16 v8, v11, -0.5, v8
	v_fma_f16 v9, v17, s7, v9
	v_fma_f16 v0, v2, s7, v0
	v_fma_f16 v1, v15, -0.5, v1
	;; [unrolled: 3-line block ×3, first 2 shown]
	v_fma_f16 v33, v15, -0.5, v33
	v_fma_f16 v8, v26, s19, v8
	v_fma_f16 v9, v23, s16, v9
	;; [unrolled: 1-line block ×5, first 2 shown]
	v_add_f16_e32 v18, v35, v18
	v_fma_f16 v27, v20, s16, v27
	v_fma_f16 v29, v10, s19, v29
	;; [unrolled: 1-line block ×3, first 2 shown]
	v_sub_f16_e32 v8, v8, v9
	v_add_f16_e32 v1, v0, v1
	v_sub_f16_e32 v25, v25, v24
	v_add_f16_e32 v13, v6, v13
	;; [unrolled: 2-line block ×3, first 2 shown]
	v_fma_f16 v0, v0, -2.0, v1
	v_pack_b32_f16 v2, v3, v18
	v_pack_b32_f16 v1, v8, v1
	v_add_u32_e32 v3, 0x200, v28
	v_fma_f16 v24, v24, 2.0, v25
	v_fma_f16 v6, v6, -2.0, v13
	ds_write2_b32 v3, v2, v1 offset0:25 offset1:246
	v_pack_b32_f16 v1, v29, v33
	v_pack_b32_f16 v2, v4, v16
	v_add_u32_e32 v3, 0x900, v28
	v_fma_f16 v27, v27, 2.0, v29
	v_fma_f16 v31, v31, -2.0, v33
	v_fma_f16 v9, v9, 2.0, v8
	ds_write2_b32 v3, v1, v2 offset0:19 offset1:240
	v_pack_b32_f16 v1, v25, v13
	v_pack_b32_f16 v2, v24, v6
	v_add_u32_e32 v3, 0x1000, v28
	ds_write2_b32 v3, v1, v2 offset0:13 offset1:234
	v_pack_b32_f16 v1, v21, v22
	v_pack_b32_f16 v2, v27, v31
	v_add_u32_e32 v3, 0x1700, v28
	v_pack_b32_f16 v0, v9, v0
	ds_write2_b32 v3, v1, v2 offset0:7 offset1:228
	ds_write_b32 v28, v0 offset:7684
.LBB0_21:
	s_or_b64 exec, exec, s[0:1]
	s_waitcnt lgkmcnt(0)
	s_barrier
	s_and_b64 exec, exec, s[4:5]
	s_cbranch_execz .LBB0_23
; %bb.22:
	global_load_dword v3, v28, s[12:13]
	ds_read_b32 v12, v28
	v_mad_u64_u32 v[4:5], s[0:1], s10, v32, 0
	v_mad_u64_u32 v[6:7], s[0:1], s8, v30, 0
	v_mov_b32_e32 v8, v5
	s_waitcnt lgkmcnt(0)
	v_lshrrev_b32_e32 v5, 16, v12
	v_mov_b32_e32 v10, v7
	v_mad_u64_u32 v[8:9], s[0:1], s11, v32, v[8:9]
	s_mov_b32 s6, 0x10798010
	s_mov_b32 s7, 0x3f407980
	v_mad_u64_u32 v[10:11], s[0:1], s9, v30, v[10:11]
	s_movk_i32 s16, 0x1ff
	v_mov_b32_e32 v1, s15
	s_movk_i32 s15, 0xffe
	v_mov_b32_e32 v2, 0x7c00
	;; [unrolled: 2-line block ×3, first 2 shown]
	s_mov_b32 s14, 0x8000
	s_mov_b32 s17, 0xffff
	s_mulk_i32 s9, 0x1d4
	v_mov_b32_e32 v29, 0
	s_waitcnt vmcnt(0)
	v_mul_f16_sdwa v7, v5, v3 dst_sel:DWORD dst_unused:UNUSED_PAD src0_sel:DWORD src1_sel:WORD_1
	v_mul_f16_sdwa v9, v12, v3 dst_sel:DWORD dst_unused:UNUSED_PAD src0_sel:DWORD src1_sel:WORD_1
	v_fma_f16 v7, v12, v3, v7
	v_fma_f16 v3, v3, v5, -v9
	v_cvt_f32_f16_e32 v9, v7
	v_cvt_f32_f16_e32 v3, v3
	v_mov_b32_e32 v5, v8
	v_mov_b32_e32 v7, v10
	v_cvt_f64_f32_e32 v[8:9], v9
	v_cvt_f64_f32_e32 v[10:11], v3
	v_mul_f64 v[8:9], v[8:9], s[6:7]
	v_mul_f64 v[10:11], v[10:11], s[6:7]
	v_and_or_b32 v3, v9, s16, v8
	v_and_or_b32 v10, v11, s16, v10
	v_cmp_ne_u32_e32 vcc, 0, v3
	v_lshrrev_b32_e32 v8, 8, v9
	v_bfe_u32 v12, v9, 20, 11
	v_cndmask_b32_e64 v3, 0, 1, vcc
	v_cmp_ne_u32_e32 vcc, 0, v10
	v_lshrrev_b32_e32 v13, 8, v11
	v_bfe_u32 v14, v11, 20, 11
	v_sub_u32_e32 v15, 0x3f1, v12
	v_cndmask_b32_e64 v10, 0, 1, vcc
	v_and_or_b32 v3, v8, s15, v3
	v_sub_u32_e32 v16, 0x3f1, v14
	v_med3_i32 v8, v15, 0, 13
	v_and_or_b32 v10, v13, s15, v10
	v_or_b32_e32 v15, 0x1000, v3
	v_add_u32_e32 v12, 0xfffffc10, v12
	v_med3_i32 v13, v16, 0, 13
	v_cmp_ne_u32_e32 vcc, 0, v3
	v_or_b32_e32 v17, 0x1000, v10
	v_lshrrev_b32_e32 v19, v8, v15
	v_add_u32_e32 v14, 0xfffffc10, v14
	v_lshl_or_b32 v16, v12, 12, v3
	v_cndmask_b32_e64 v3, 0, 1, vcc
	v_cmp_ne_u32_e32 vcc, 0, v10
	v_lshrrev_b32_e32 v20, v13, v17
	v_lshlrev_b32_e32 v8, v8, v19
	v_lshl_or_b32 v18, v14, 12, v10
	v_cndmask_b32_e64 v10, 0, 1, vcc
	v_lshlrev_b32_e32 v13, v13, v20
	v_cmp_ne_u32_e32 vcc, v8, v15
	v_lshl_or_b32 v3, v3, 9, v2
	v_lshl_or_b32 v10, v10, 9, v2
	v_cndmask_b32_e64 v8, 0, 1, vcc
	v_cmp_ne_u32_e32 vcc, v13, v17
	v_or_b32_e32 v8, v19, v8
	v_and_b32_sdwa v9, v9, s14 dst_sel:DWORD dst_unused:UNUSED_PAD src0_sel:WORD_1 src1_sel:DWORD
	v_cndmask_b32_e64 v13, 0, 1, vcc
	v_cmp_gt_i32_e32 vcc, 1, v12
	v_or_b32_e32 v13, v20, v13
	v_lshrrev_b32_e32 v11, 16, v11
	v_cndmask_b32_e32 v8, v16, v8, vcc
	v_cmp_gt_i32_e32 vcc, 1, v14
	v_and_b32_e32 v15, 7, v8
	v_cmp_eq_u32_e64 s[0:1], 3, v15
	v_cndmask_b32_e32 v13, v18, v13, vcc
	v_cmp_lt_i32_e32 vcc, 5, v15
	v_lshrrev_b32_e32 v8, 2, v8
	v_and_b32_e32 v16, 7, v13
	s_or_b64 vcc, s[0:1], vcc
	v_cmp_lt_i32_e64 s[2:3], 5, v16
	v_cmp_eq_u32_e64 s[4:5], 3, v16
	v_addc_co_u32_e32 v8, vcc, 0, v8, vcc
	v_lshrrev_b32_e32 v13, 2, v13
	s_or_b64 vcc, s[4:5], s[2:3]
	v_addc_co_u32_e32 v13, vcc, 0, v13, vcc
	v_cmp_gt_i32_e32 vcc, 31, v12
	v_lshl_add_u64 v[0:1], v[4:5], 2, v[0:1]
	v_lshl_add_u64 v[0:1], v[6:7], 2, v[0:1]
	v_cndmask_b32_e32 v8, v2, v8, vcc
	v_cmp_gt_i32_e32 vcc, 31, v14
	ds_read2_b32 v[4:5], v28 offset0:117 offset1:234
	s_waitcnt lgkmcnt(0)
	v_lshrrev_b32_e32 v7, 16, v4
	v_cndmask_b32_e32 v13, v2, v13, vcc
	v_cmp_eq_u32_e32 vcc, s10, v12
	s_nop 1
	v_cndmask_b32_e32 v3, v8, v3, vcc
	v_cmp_eq_u32_e32 vcc, s10, v14
	v_bitop3_b32 v3, v9, s17, v3 bitop3:0xc8
	s_nop 0
	v_cndmask_b32_e32 v8, v13, v10, vcc
	v_and_or_b32 v8, v11, s14, v8
	v_lshl_or_b32 v3, v8, 16, v3
	global_store_dword v[0:1], v3, off
	global_load_dword v6, v28, s[12:13] offset:468
	v_mov_b32_e32 v3, 0x1d4
	v_mad_u64_u32 v[0:1], s[0:1], s8, v3, v[0:1]
	v_add_u32_e32 v1, s9, v1
	s_waitcnt vmcnt(0)
	v_mul_f16_sdwa v8, v7, v6 dst_sel:DWORD dst_unused:UNUSED_PAD src0_sel:DWORD src1_sel:WORD_1
	v_mul_f16_sdwa v9, v4, v6 dst_sel:DWORD dst_unused:UNUSED_PAD src0_sel:DWORD src1_sel:WORD_1
	v_fma_f16 v4, v4, v6, v8
	v_fma_f16 v6, v6, v7, -v9
	v_cvt_f32_f16_e32 v4, v4
	v_cvt_f32_f16_e32 v8, v6
	v_cvt_f64_f32_e32 v[6:7], v4
	v_cvt_f64_f32_e32 v[8:9], v8
	v_mul_f64 v[6:7], v[6:7], s[6:7]
	v_mul_f64 v[8:9], v[8:9], s[6:7]
	v_and_or_b32 v4, v7, s16, v6
	v_and_or_b32 v8, v9, s16, v8
	v_cmp_ne_u32_e32 vcc, 0, v4
	v_lshrrev_b32_e32 v6, 8, v7
	v_bfe_u32 v10, v7, 20, 11
	v_cndmask_b32_e64 v4, 0, 1, vcc
	v_cmp_ne_u32_e32 vcc, 0, v8
	v_lshrrev_b32_e32 v11, 8, v9
	v_bfe_u32 v12, v9, 20, 11
	v_sub_u32_e32 v13, 0x3f1, v10
	v_cndmask_b32_e64 v8, 0, 1, vcc
	v_and_or_b32 v4, v6, s15, v4
	v_sub_u32_e32 v14, 0x3f1, v12
	v_med3_i32 v6, v13, 0, 13
	v_and_or_b32 v8, v11, s15, v8
	v_or_b32_e32 v13, 0x1000, v4
	v_add_u32_e32 v10, 0xfffffc10, v10
	v_med3_i32 v11, v14, 0, 13
	v_cmp_ne_u32_e32 vcc, 0, v4
	v_or_b32_e32 v15, 0x1000, v8
	v_lshrrev_b32_e32 v17, v6, v13
	v_add_u32_e32 v12, 0xfffffc10, v12
	v_lshl_or_b32 v14, v10, 12, v4
	v_cndmask_b32_e64 v4, 0, 1, vcc
	v_cmp_ne_u32_e32 vcc, 0, v8
	v_lshrrev_b32_e32 v18, v11, v15
	v_lshlrev_b32_e32 v6, v6, v17
	v_lshl_or_b32 v16, v12, 12, v8
	v_cndmask_b32_e64 v8, 0, 1, vcc
	v_lshlrev_b32_e32 v11, v11, v18
	v_cmp_ne_u32_e32 vcc, v6, v13
	v_lshl_or_b32 v4, v4, 9, v2
	v_lshl_or_b32 v8, v8, 9, v2
	v_cndmask_b32_e64 v6, 0, 1, vcc
	v_cmp_ne_u32_e32 vcc, v11, v15
	v_or_b32_e32 v6, v17, v6
	v_and_b32_sdwa v7, v7, s14 dst_sel:DWORD dst_unused:UNUSED_PAD src0_sel:WORD_1 src1_sel:DWORD
	v_cndmask_b32_e64 v11, 0, 1, vcc
	v_cmp_gt_i32_e32 vcc, 1, v10
	v_or_b32_e32 v11, v18, v11
	v_lshrrev_b32_e32 v9, 16, v9
	v_cndmask_b32_e32 v6, v14, v6, vcc
	v_cmp_gt_i32_e32 vcc, 1, v12
	v_and_b32_e32 v13, 7, v6
	v_cmp_eq_u32_e64 s[0:1], 3, v13
	v_cndmask_b32_e32 v11, v16, v11, vcc
	v_cmp_lt_i32_e32 vcc, 5, v13
	v_lshrrev_b32_e32 v6, 2, v6
	v_and_b32_e32 v14, 7, v11
	s_or_b64 vcc, s[0:1], vcc
	v_cmp_lt_i32_e64 s[2:3], 5, v14
	v_cmp_eq_u32_e64 s[4:5], 3, v14
	v_addc_co_u32_e32 v6, vcc, 0, v6, vcc
	v_lshrrev_b32_e32 v11, 2, v11
	s_or_b64 vcc, s[4:5], s[2:3]
	v_addc_co_u32_e32 v11, vcc, 0, v11, vcc
	v_cmp_gt_i32_e32 vcc, 31, v10
	s_nop 1
	v_cndmask_b32_e32 v6, v2, v6, vcc
	v_cmp_gt_i32_e32 vcc, 31, v12
	s_nop 1
	v_cndmask_b32_e32 v11, v2, v11, vcc
	v_cmp_eq_u32_e32 vcc, s10, v10
	s_nop 1
	v_cndmask_b32_e32 v4, v6, v4, vcc
	v_cmp_eq_u32_e32 vcc, s10, v12
	v_bitop3_b32 v4, v7, s17, v4 bitop3:0xc8
	s_nop 0
	v_cndmask_b32_e32 v6, v11, v8, vcc
	v_and_or_b32 v6, v9, s14, v6
	v_lshl_or_b32 v4, v6, 16, v4
	global_store_dword v[0:1], v4, off
	global_load_dword v4, v28, s[12:13] offset:936
	v_lshrrev_b32_e32 v6, 16, v5
	v_mad_u64_u32 v[0:1], s[0:1], s8, v3, v[0:1]
	v_add_u32_e32 v1, s9, v1
	s_waitcnt vmcnt(0)
	v_mul_f16_sdwa v7, v6, v4 dst_sel:DWORD dst_unused:UNUSED_PAD src0_sel:DWORD src1_sel:WORD_1
	v_mul_f16_sdwa v8, v5, v4 dst_sel:DWORD dst_unused:UNUSED_PAD src0_sel:DWORD src1_sel:WORD_1
	v_fma_f16 v5, v5, v4, v7
	v_fma_f16 v4, v4, v6, -v8
	v_cvt_f32_f16_e32 v5, v5
	v_cvt_f32_f16_e32 v6, v4
	v_cvt_f64_f32_e32 v[4:5], v5
	v_cvt_f64_f32_e32 v[6:7], v6
	v_mul_f64 v[4:5], v[4:5], s[6:7]
	v_mul_f64 v[6:7], v[6:7], s[6:7]
	v_and_or_b32 v4, v5, s16, v4
	v_and_or_b32 v6, v7, s16, v6
	v_cmp_ne_u32_e32 vcc, 0, v4
	v_lshrrev_b32_e32 v8, 8, v5
	v_bfe_u32 v9, v5, 20, 11
	v_cndmask_b32_e64 v4, 0, 1, vcc
	v_cmp_ne_u32_e32 vcc, 0, v6
	v_lshrrev_b32_e32 v10, 8, v7
	v_bfe_u32 v11, v7, 20, 11
	v_sub_u32_e32 v12, 0x3f1, v9
	v_cndmask_b32_e64 v6, 0, 1, vcc
	v_and_or_b32 v4, v8, s15, v4
	v_sub_u32_e32 v13, 0x3f1, v11
	v_med3_i32 v8, v12, 0, 13
	v_and_or_b32 v6, v10, s15, v6
	v_or_b32_e32 v12, 0x1000, v4
	v_add_u32_e32 v9, 0xfffffc10, v9
	v_med3_i32 v10, v13, 0, 13
	v_cmp_ne_u32_e32 vcc, 0, v4
	v_or_b32_e32 v14, 0x1000, v6
	v_lshrrev_b32_e32 v16, v8, v12
	v_add_u32_e32 v11, 0xfffffc10, v11
	v_lshl_or_b32 v13, v9, 12, v4
	v_cndmask_b32_e64 v4, 0, 1, vcc
	v_cmp_ne_u32_e32 vcc, 0, v6
	v_lshrrev_b32_e32 v17, v10, v14
	v_lshlrev_b32_e32 v8, v8, v16
	v_lshl_or_b32 v15, v11, 12, v6
	v_cndmask_b32_e64 v6, 0, 1, vcc
	v_lshlrev_b32_e32 v10, v10, v17
	v_cmp_ne_u32_e32 vcc, v8, v12
	v_lshl_or_b32 v4, v4, 9, v2
	v_lshl_or_b32 v6, v6, 9, v2
	v_cndmask_b32_e64 v8, 0, 1, vcc
	v_cmp_ne_u32_e32 vcc, v10, v14
	v_or_b32_e32 v8, v16, v8
	v_and_b32_sdwa v5, v5, s14 dst_sel:DWORD dst_unused:UNUSED_PAD src0_sel:WORD_1 src1_sel:DWORD
	v_cndmask_b32_e64 v10, 0, 1, vcc
	v_cmp_gt_i32_e32 vcc, 1, v9
	v_or_b32_e32 v10, v17, v10
	v_lshrrev_b32_e32 v7, 16, v7
	v_cndmask_b32_e32 v8, v13, v8, vcc
	v_cmp_gt_i32_e32 vcc, 1, v11
	v_and_b32_e32 v12, 7, v8
	v_cmp_eq_u32_e64 s[0:1], 3, v12
	v_cndmask_b32_e32 v10, v15, v10, vcc
	v_cmp_lt_i32_e32 vcc, 5, v12
	v_lshrrev_b32_e32 v8, 2, v8
	v_and_b32_e32 v13, 7, v10
	s_or_b64 vcc, s[0:1], vcc
	v_cmp_lt_i32_e64 s[2:3], 5, v13
	v_cmp_eq_u32_e64 s[4:5], 3, v13
	v_addc_co_u32_e32 v8, vcc, 0, v8, vcc
	v_lshrrev_b32_e32 v10, 2, v10
	s_or_b64 vcc, s[4:5], s[2:3]
	v_addc_co_u32_e32 v10, vcc, 0, v10, vcc
	v_cmp_gt_i32_e32 vcc, 31, v9
	s_nop 1
	v_cndmask_b32_e32 v8, v2, v8, vcc
	v_cmp_gt_i32_e32 vcc, 31, v11
	s_nop 1
	v_cndmask_b32_e32 v10, v2, v10, vcc
	v_cmp_eq_u32_e32 vcc, s10, v9
	s_nop 1
	v_cndmask_b32_e32 v4, v8, v4, vcc
	v_cmp_eq_u32_e32 vcc, s10, v11
	v_bitop3_b32 v4, v5, s17, v4 bitop3:0xc8
	s_nop 0
	v_cndmask_b32_e32 v6, v10, v6, vcc
	v_and_or_b32 v6, v7, s14, v6
	v_lshl_or_b32 v4, v6, 16, v4
	global_store_dword v[0:1], v4, off
	global_load_dword v6, v28, s[12:13] offset:1404
	v_add_u32_e32 v4, 0x400, v28
	ds_read2_b32 v[4:5], v4 offset0:95 offset1:212
	v_mad_u64_u32 v[0:1], s[0:1], s8, v3, v[0:1]
	v_add_u32_e32 v1, s9, v1
	s_waitcnt lgkmcnt(0)
	v_lshrrev_b32_e32 v7, 16, v4
	s_waitcnt vmcnt(0)
	v_mul_f16_sdwa v8, v7, v6 dst_sel:DWORD dst_unused:UNUSED_PAD src0_sel:DWORD src1_sel:WORD_1
	v_mul_f16_sdwa v9, v4, v6 dst_sel:DWORD dst_unused:UNUSED_PAD src0_sel:DWORD src1_sel:WORD_1
	v_fma_f16 v4, v4, v6, v8
	v_fma_f16 v6, v6, v7, -v9
	v_cvt_f32_f16_e32 v4, v4
	v_cvt_f32_f16_e32 v8, v6
	v_cvt_f64_f32_e32 v[6:7], v4
	v_cvt_f64_f32_e32 v[8:9], v8
	v_mul_f64 v[6:7], v[6:7], s[6:7]
	v_mul_f64 v[8:9], v[8:9], s[6:7]
	v_and_or_b32 v4, v7, s16, v6
	v_and_or_b32 v8, v9, s16, v8
	v_cmp_ne_u32_e32 vcc, 0, v4
	v_lshrrev_b32_e32 v6, 8, v7
	v_bfe_u32 v10, v7, 20, 11
	v_cndmask_b32_e64 v4, 0, 1, vcc
	v_cmp_ne_u32_e32 vcc, 0, v8
	v_lshrrev_b32_e32 v11, 8, v9
	v_bfe_u32 v12, v9, 20, 11
	v_sub_u32_e32 v13, 0x3f1, v10
	v_cndmask_b32_e64 v8, 0, 1, vcc
	v_and_or_b32 v4, v6, s15, v4
	v_sub_u32_e32 v14, 0x3f1, v12
	v_med3_i32 v6, v13, 0, 13
	v_and_or_b32 v8, v11, s15, v8
	v_or_b32_e32 v13, 0x1000, v4
	v_add_u32_e32 v10, 0xfffffc10, v10
	v_med3_i32 v11, v14, 0, 13
	v_cmp_ne_u32_e32 vcc, 0, v4
	v_or_b32_e32 v15, 0x1000, v8
	v_lshrrev_b32_e32 v17, v6, v13
	v_add_u32_e32 v12, 0xfffffc10, v12
	v_lshl_or_b32 v14, v10, 12, v4
	v_cndmask_b32_e64 v4, 0, 1, vcc
	v_cmp_ne_u32_e32 vcc, 0, v8
	v_lshrrev_b32_e32 v18, v11, v15
	v_lshlrev_b32_e32 v6, v6, v17
	v_lshl_or_b32 v16, v12, 12, v8
	v_cndmask_b32_e64 v8, 0, 1, vcc
	v_lshlrev_b32_e32 v11, v11, v18
	v_cmp_ne_u32_e32 vcc, v6, v13
	v_lshl_or_b32 v4, v4, 9, v2
	v_lshl_or_b32 v8, v8, 9, v2
	v_cndmask_b32_e64 v6, 0, 1, vcc
	v_cmp_ne_u32_e32 vcc, v11, v15
	v_or_b32_e32 v6, v17, v6
	v_and_b32_sdwa v7, v7, s14 dst_sel:DWORD dst_unused:UNUSED_PAD src0_sel:WORD_1 src1_sel:DWORD
	v_cndmask_b32_e64 v11, 0, 1, vcc
	v_cmp_gt_i32_e32 vcc, 1, v10
	v_or_b32_e32 v11, v18, v11
	v_lshrrev_b32_e32 v9, 16, v9
	v_cndmask_b32_e32 v6, v14, v6, vcc
	v_cmp_gt_i32_e32 vcc, 1, v12
	v_and_b32_e32 v13, 7, v6
	v_cmp_eq_u32_e64 s[0:1], 3, v13
	v_cndmask_b32_e32 v11, v16, v11, vcc
	v_cmp_lt_i32_e32 vcc, 5, v13
	v_lshrrev_b32_e32 v6, 2, v6
	v_and_b32_e32 v14, 7, v11
	s_or_b64 vcc, s[0:1], vcc
	v_cmp_lt_i32_e64 s[2:3], 5, v14
	v_cmp_eq_u32_e64 s[4:5], 3, v14
	v_addc_co_u32_e32 v6, vcc, 0, v6, vcc
	v_lshrrev_b32_e32 v11, 2, v11
	s_or_b64 vcc, s[4:5], s[2:3]
	v_addc_co_u32_e32 v11, vcc, 0, v11, vcc
	v_cmp_gt_i32_e32 vcc, 31, v10
	s_nop 1
	v_cndmask_b32_e32 v6, v2, v6, vcc
	v_cmp_gt_i32_e32 vcc, 31, v12
	s_nop 1
	v_cndmask_b32_e32 v11, v2, v11, vcc
	v_cmp_eq_u32_e32 vcc, s10, v10
	s_nop 1
	v_cndmask_b32_e32 v4, v6, v4, vcc
	v_cmp_eq_u32_e32 vcc, s10, v12
	v_bitop3_b32 v4, v7, s17, v4 bitop3:0xc8
	s_nop 0
	v_cndmask_b32_e32 v6, v11, v8, vcc
	v_and_or_b32 v6, v9, s14, v6
	v_lshl_or_b32 v4, v6, 16, v4
	global_store_dword v[0:1], v4, off
	global_load_dword v4, v28, s[12:13] offset:1872
	v_lshrrev_b32_e32 v6, 16, v5
	v_mad_u64_u32 v[0:1], s[0:1], s8, v3, v[0:1]
	v_add_u32_e32 v1, s9, v1
	s_waitcnt vmcnt(0)
	v_mul_f16_sdwa v7, v6, v4 dst_sel:DWORD dst_unused:UNUSED_PAD src0_sel:DWORD src1_sel:WORD_1
	v_mul_f16_sdwa v8, v5, v4 dst_sel:DWORD dst_unused:UNUSED_PAD src0_sel:DWORD src1_sel:WORD_1
	v_fma_f16 v5, v5, v4, v7
	v_fma_f16 v4, v4, v6, -v8
	v_cvt_f32_f16_e32 v5, v5
	v_cvt_f32_f16_e32 v6, v4
	v_cvt_f64_f32_e32 v[4:5], v5
	v_cvt_f64_f32_e32 v[6:7], v6
	v_mul_f64 v[4:5], v[4:5], s[6:7]
	v_mul_f64 v[6:7], v[6:7], s[6:7]
	v_and_or_b32 v4, v5, s16, v4
	v_and_or_b32 v6, v7, s16, v6
	v_cmp_ne_u32_e32 vcc, 0, v4
	v_lshrrev_b32_e32 v8, 8, v5
	v_bfe_u32 v9, v5, 20, 11
	v_cndmask_b32_e64 v4, 0, 1, vcc
	v_cmp_ne_u32_e32 vcc, 0, v6
	v_lshrrev_b32_e32 v10, 8, v7
	v_bfe_u32 v11, v7, 20, 11
	v_sub_u32_e32 v12, 0x3f1, v9
	v_cndmask_b32_e64 v6, 0, 1, vcc
	v_and_or_b32 v4, v8, s15, v4
	v_sub_u32_e32 v13, 0x3f1, v11
	v_med3_i32 v8, v12, 0, 13
	v_and_or_b32 v6, v10, s15, v6
	v_or_b32_e32 v12, 0x1000, v4
	v_add_u32_e32 v9, 0xfffffc10, v9
	v_med3_i32 v10, v13, 0, 13
	v_cmp_ne_u32_e32 vcc, 0, v4
	v_or_b32_e32 v14, 0x1000, v6
	v_lshrrev_b32_e32 v16, v8, v12
	v_add_u32_e32 v11, 0xfffffc10, v11
	v_lshl_or_b32 v13, v9, 12, v4
	v_cndmask_b32_e64 v4, 0, 1, vcc
	v_cmp_ne_u32_e32 vcc, 0, v6
	v_lshrrev_b32_e32 v17, v10, v14
	v_lshlrev_b32_e32 v8, v8, v16
	v_lshl_or_b32 v15, v11, 12, v6
	v_cndmask_b32_e64 v6, 0, 1, vcc
	v_lshlrev_b32_e32 v10, v10, v17
	v_cmp_ne_u32_e32 vcc, v8, v12
	v_lshl_or_b32 v4, v4, 9, v2
	v_lshl_or_b32 v6, v6, 9, v2
	v_cndmask_b32_e64 v8, 0, 1, vcc
	v_cmp_ne_u32_e32 vcc, v10, v14
	v_or_b32_e32 v8, v16, v8
	v_and_b32_sdwa v5, v5, s14 dst_sel:DWORD dst_unused:UNUSED_PAD src0_sel:WORD_1 src1_sel:DWORD
	v_cndmask_b32_e64 v10, 0, 1, vcc
	v_cmp_gt_i32_e32 vcc, 1, v9
	v_or_b32_e32 v10, v17, v10
	v_lshrrev_b32_e32 v7, 16, v7
	v_cndmask_b32_e32 v8, v13, v8, vcc
	v_cmp_gt_i32_e32 vcc, 1, v11
	v_and_b32_e32 v12, 7, v8
	v_cmp_eq_u32_e64 s[0:1], 3, v12
	v_cndmask_b32_e32 v10, v15, v10, vcc
	v_cmp_lt_i32_e32 vcc, 5, v12
	v_lshrrev_b32_e32 v8, 2, v8
	v_and_b32_e32 v13, 7, v10
	s_or_b64 vcc, s[0:1], vcc
	v_cmp_lt_i32_e64 s[2:3], 5, v13
	v_cmp_eq_u32_e64 s[4:5], 3, v13
	v_addc_co_u32_e32 v8, vcc, 0, v8, vcc
	v_lshrrev_b32_e32 v10, 2, v10
	s_or_b64 vcc, s[4:5], s[2:3]
	v_addc_co_u32_e32 v10, vcc, 0, v10, vcc
	v_cmp_gt_i32_e32 vcc, 31, v9
	s_nop 1
	v_cndmask_b32_e32 v8, v2, v8, vcc
	v_cmp_gt_i32_e32 vcc, 31, v11
	s_nop 1
	v_cndmask_b32_e32 v10, v2, v10, vcc
	v_cmp_eq_u32_e32 vcc, s10, v9
	s_nop 1
	v_cndmask_b32_e32 v4, v8, v4, vcc
	v_cmp_eq_u32_e32 vcc, s10, v11
	v_bitop3_b32 v4, v5, s17, v4 bitop3:0xc8
	s_nop 0
	v_cndmask_b32_e32 v6, v10, v6, vcc
	v_and_or_b32 v6, v7, s14, v6
	v_lshl_or_b32 v4, v6, 16, v4
	global_store_dword v[0:1], v4, off
	global_load_dword v6, v28, s[12:13] offset:2340
	v_add_u32_e32 v4, 0x800, v28
	ds_read2_b32 v[4:5], v4 offset0:73 offset1:190
	v_mad_u64_u32 v[0:1], s[0:1], s8, v3, v[0:1]
	v_add_u32_e32 v1, s9, v1
	s_waitcnt lgkmcnt(0)
	v_lshrrev_b32_e32 v7, 16, v4
	s_waitcnt vmcnt(0)
	v_mul_f16_sdwa v8, v7, v6 dst_sel:DWORD dst_unused:UNUSED_PAD src0_sel:DWORD src1_sel:WORD_1
	v_mul_f16_sdwa v9, v4, v6 dst_sel:DWORD dst_unused:UNUSED_PAD src0_sel:DWORD src1_sel:WORD_1
	v_fma_f16 v4, v4, v6, v8
	v_fma_f16 v6, v6, v7, -v9
	v_cvt_f32_f16_e32 v4, v4
	v_cvt_f32_f16_e32 v8, v6
	v_cvt_f64_f32_e32 v[6:7], v4
	v_cvt_f64_f32_e32 v[8:9], v8
	v_mul_f64 v[6:7], v[6:7], s[6:7]
	v_mul_f64 v[8:9], v[8:9], s[6:7]
	v_and_or_b32 v4, v7, s16, v6
	v_and_or_b32 v8, v9, s16, v8
	v_cmp_ne_u32_e32 vcc, 0, v4
	v_lshrrev_b32_e32 v6, 8, v7
	v_bfe_u32 v10, v7, 20, 11
	v_cndmask_b32_e64 v4, 0, 1, vcc
	v_cmp_ne_u32_e32 vcc, 0, v8
	v_lshrrev_b32_e32 v11, 8, v9
	v_bfe_u32 v12, v9, 20, 11
	v_sub_u32_e32 v13, 0x3f1, v10
	v_cndmask_b32_e64 v8, 0, 1, vcc
	v_and_or_b32 v4, v6, s15, v4
	v_sub_u32_e32 v14, 0x3f1, v12
	v_med3_i32 v6, v13, 0, 13
	v_and_or_b32 v8, v11, s15, v8
	v_or_b32_e32 v13, 0x1000, v4
	v_add_u32_e32 v10, 0xfffffc10, v10
	v_med3_i32 v11, v14, 0, 13
	v_cmp_ne_u32_e32 vcc, 0, v4
	v_or_b32_e32 v15, 0x1000, v8
	v_lshrrev_b32_e32 v17, v6, v13
	v_add_u32_e32 v12, 0xfffffc10, v12
	v_lshl_or_b32 v14, v10, 12, v4
	v_cndmask_b32_e64 v4, 0, 1, vcc
	v_cmp_ne_u32_e32 vcc, 0, v8
	v_lshrrev_b32_e32 v18, v11, v15
	v_lshlrev_b32_e32 v6, v6, v17
	v_lshl_or_b32 v16, v12, 12, v8
	v_cndmask_b32_e64 v8, 0, 1, vcc
	v_lshlrev_b32_e32 v11, v11, v18
	v_cmp_ne_u32_e32 vcc, v6, v13
	v_lshl_or_b32 v4, v4, 9, v2
	v_lshl_or_b32 v8, v8, 9, v2
	v_cndmask_b32_e64 v6, 0, 1, vcc
	v_cmp_ne_u32_e32 vcc, v11, v15
	v_or_b32_e32 v6, v17, v6
	v_and_b32_sdwa v7, v7, s14 dst_sel:DWORD dst_unused:UNUSED_PAD src0_sel:WORD_1 src1_sel:DWORD
	v_cndmask_b32_e64 v11, 0, 1, vcc
	v_cmp_gt_i32_e32 vcc, 1, v10
	v_or_b32_e32 v11, v18, v11
	v_lshrrev_b32_e32 v9, 16, v9
	v_cndmask_b32_e32 v6, v14, v6, vcc
	v_cmp_gt_i32_e32 vcc, 1, v12
	v_and_b32_e32 v13, 7, v6
	v_cmp_eq_u32_e64 s[0:1], 3, v13
	v_cndmask_b32_e32 v11, v16, v11, vcc
	v_cmp_lt_i32_e32 vcc, 5, v13
	v_lshrrev_b32_e32 v6, 2, v6
	v_and_b32_e32 v14, 7, v11
	s_or_b64 vcc, s[0:1], vcc
	v_cmp_lt_i32_e64 s[2:3], 5, v14
	v_cmp_eq_u32_e64 s[4:5], 3, v14
	v_addc_co_u32_e32 v6, vcc, 0, v6, vcc
	v_lshrrev_b32_e32 v11, 2, v11
	s_or_b64 vcc, s[4:5], s[2:3]
	v_addc_co_u32_e32 v11, vcc, 0, v11, vcc
	v_cmp_gt_i32_e32 vcc, 31, v10
	s_nop 1
	v_cndmask_b32_e32 v6, v2, v6, vcc
	v_cmp_gt_i32_e32 vcc, 31, v12
	s_nop 1
	v_cndmask_b32_e32 v11, v2, v11, vcc
	v_cmp_eq_u32_e32 vcc, s10, v10
	s_nop 1
	v_cndmask_b32_e32 v4, v6, v4, vcc
	v_cmp_eq_u32_e32 vcc, s10, v12
	v_bitop3_b32 v4, v7, s17, v4 bitop3:0xc8
	s_nop 0
	v_cndmask_b32_e32 v6, v11, v8, vcc
	v_and_or_b32 v6, v9, s14, v6
	v_lshl_or_b32 v4, v6, 16, v4
	global_store_dword v[0:1], v4, off
	global_load_dword v4, v28, s[12:13] offset:2808
	v_lshrrev_b32_e32 v6, 16, v5
	v_mad_u64_u32 v[0:1], s[0:1], s8, v3, v[0:1]
	v_add_u32_e32 v1, s9, v1
	s_waitcnt vmcnt(0)
	v_mul_f16_sdwa v7, v6, v4 dst_sel:DWORD dst_unused:UNUSED_PAD src0_sel:DWORD src1_sel:WORD_1
	v_mul_f16_sdwa v8, v5, v4 dst_sel:DWORD dst_unused:UNUSED_PAD src0_sel:DWORD src1_sel:WORD_1
	v_fma_f16 v5, v5, v4, v7
	v_fma_f16 v4, v4, v6, -v8
	v_cvt_f32_f16_e32 v5, v5
	v_cvt_f32_f16_e32 v6, v4
	v_cvt_f64_f32_e32 v[4:5], v5
	v_cvt_f64_f32_e32 v[6:7], v6
	v_mul_f64 v[4:5], v[4:5], s[6:7]
	v_mul_f64 v[6:7], v[6:7], s[6:7]
	v_and_or_b32 v4, v5, s16, v4
	v_and_or_b32 v6, v7, s16, v6
	v_cmp_ne_u32_e32 vcc, 0, v4
	v_lshrrev_b32_e32 v8, 8, v5
	v_bfe_u32 v9, v5, 20, 11
	v_cndmask_b32_e64 v4, 0, 1, vcc
	v_cmp_ne_u32_e32 vcc, 0, v6
	v_lshrrev_b32_e32 v10, 8, v7
	v_bfe_u32 v11, v7, 20, 11
	v_sub_u32_e32 v12, 0x3f1, v9
	v_cndmask_b32_e64 v6, 0, 1, vcc
	v_and_or_b32 v4, v8, s15, v4
	v_sub_u32_e32 v13, 0x3f1, v11
	v_med3_i32 v8, v12, 0, 13
	v_and_or_b32 v6, v10, s15, v6
	v_or_b32_e32 v12, 0x1000, v4
	v_add_u32_e32 v9, 0xfffffc10, v9
	v_med3_i32 v10, v13, 0, 13
	v_cmp_ne_u32_e32 vcc, 0, v4
	v_or_b32_e32 v14, 0x1000, v6
	v_lshrrev_b32_e32 v16, v8, v12
	v_add_u32_e32 v11, 0xfffffc10, v11
	v_lshl_or_b32 v13, v9, 12, v4
	v_cndmask_b32_e64 v4, 0, 1, vcc
	v_cmp_ne_u32_e32 vcc, 0, v6
	v_lshrrev_b32_e32 v17, v10, v14
	v_lshlrev_b32_e32 v8, v8, v16
	v_lshl_or_b32 v15, v11, 12, v6
	v_cndmask_b32_e64 v6, 0, 1, vcc
	v_lshlrev_b32_e32 v10, v10, v17
	v_cmp_ne_u32_e32 vcc, v8, v12
	v_lshl_or_b32 v4, v4, 9, v2
	v_lshl_or_b32 v6, v6, 9, v2
	v_cndmask_b32_e64 v8, 0, 1, vcc
	v_cmp_ne_u32_e32 vcc, v10, v14
	v_or_b32_e32 v8, v16, v8
	v_and_b32_sdwa v5, v5, s14 dst_sel:DWORD dst_unused:UNUSED_PAD src0_sel:WORD_1 src1_sel:DWORD
	v_cndmask_b32_e64 v10, 0, 1, vcc
	v_cmp_gt_i32_e32 vcc, 1, v9
	v_or_b32_e32 v10, v17, v10
	v_lshrrev_b32_e32 v7, 16, v7
	v_cndmask_b32_e32 v8, v13, v8, vcc
	v_cmp_gt_i32_e32 vcc, 1, v11
	v_and_b32_e32 v12, 7, v8
	v_cmp_eq_u32_e64 s[0:1], 3, v12
	v_cndmask_b32_e32 v10, v15, v10, vcc
	v_cmp_lt_i32_e32 vcc, 5, v12
	v_lshrrev_b32_e32 v8, 2, v8
	v_and_b32_e32 v13, 7, v10
	s_or_b64 vcc, s[0:1], vcc
	v_cmp_lt_i32_e64 s[2:3], 5, v13
	v_cmp_eq_u32_e64 s[4:5], 3, v13
	v_addc_co_u32_e32 v8, vcc, 0, v8, vcc
	v_lshrrev_b32_e32 v10, 2, v10
	s_or_b64 vcc, s[4:5], s[2:3]
	v_addc_co_u32_e32 v10, vcc, 0, v10, vcc
	v_cmp_gt_i32_e32 vcc, 31, v9
	s_nop 1
	v_cndmask_b32_e32 v8, v2, v8, vcc
	v_cmp_gt_i32_e32 vcc, 31, v11
	s_nop 1
	v_cndmask_b32_e32 v10, v2, v10, vcc
	v_cmp_eq_u32_e32 vcc, s10, v9
	s_nop 1
	v_cndmask_b32_e32 v4, v8, v4, vcc
	v_cmp_eq_u32_e32 vcc, s10, v11
	v_bitop3_b32 v4, v5, s17, v4 bitop3:0xc8
	s_nop 0
	v_cndmask_b32_e32 v6, v10, v6, vcc
	v_and_or_b32 v6, v7, s14, v6
	v_lshl_or_b32 v4, v6, 16, v4
	global_store_dword v[0:1], v4, off
	global_load_dword v6, v28, s[12:13] offset:3276
	v_add_u32_e32 v4, 0xc00, v28
	ds_read2_b32 v[4:5], v4 offset0:51 offset1:168
	s_waitcnt lgkmcnt(0)
	v_lshrrev_b32_e32 v7, 16, v4
	s_waitcnt vmcnt(0)
	v_mul_f16_sdwa v8, v7, v6 dst_sel:DWORD dst_unused:UNUSED_PAD src0_sel:DWORD src1_sel:WORD_1
	v_mul_f16_sdwa v9, v4, v6 dst_sel:DWORD dst_unused:UNUSED_PAD src0_sel:DWORD src1_sel:WORD_1
	v_fma_f16 v4, v4, v6, v8
	v_fma_f16 v6, v6, v7, -v9
	v_cvt_f32_f16_e32 v4, v4
	v_cvt_f32_f16_e32 v8, v6
	v_mad_u64_u32 v[6:7], s[0:1], s8, v3, v[0:1]
	v_cvt_f64_f32_e32 v[0:1], v4
	v_cvt_f64_f32_e32 v[8:9], v8
	v_mul_f64 v[0:1], v[0:1], s[6:7]
	v_mul_f64 v[8:9], v[8:9], s[6:7]
	v_and_or_b32 v0, v1, s16, v0
	v_and_or_b32 v8, v9, s16, v8
	v_cmp_ne_u32_e32 vcc, 0, v0
	v_lshrrev_b32_e32 v4, 8, v1
	v_bfe_u32 v10, v1, 20, 11
	v_cndmask_b32_e64 v0, 0, 1, vcc
	v_cmp_ne_u32_e32 vcc, 0, v8
	v_lshrrev_b32_e32 v11, 8, v9
	v_bfe_u32 v12, v9, 20, 11
	v_sub_u32_e32 v13, 0x3f1, v10
	v_cndmask_b32_e64 v8, 0, 1, vcc
	v_and_or_b32 v0, v4, s15, v0
	v_sub_u32_e32 v14, 0x3f1, v12
	v_med3_i32 v4, v13, 0, 13
	v_and_or_b32 v8, v11, s15, v8
	v_or_b32_e32 v13, 0x1000, v0
	v_add_u32_e32 v10, 0xfffffc10, v10
	v_med3_i32 v11, v14, 0, 13
	v_cmp_ne_u32_e32 vcc, 0, v0
	v_or_b32_e32 v15, 0x1000, v8
	v_lshrrev_b32_e32 v17, v4, v13
	v_add_u32_e32 v12, 0xfffffc10, v12
	v_lshl_or_b32 v14, v10, 12, v0
	v_cndmask_b32_e64 v0, 0, 1, vcc
	v_cmp_ne_u32_e32 vcc, 0, v8
	v_lshrrev_b32_e32 v18, v11, v15
	v_lshlrev_b32_e32 v4, v4, v17
	v_lshl_or_b32 v16, v12, 12, v8
	v_cndmask_b32_e64 v8, 0, 1, vcc
	v_lshlrev_b32_e32 v11, v11, v18
	v_cmp_ne_u32_e32 vcc, v4, v13
	v_lshl_or_b32 v0, v0, 9, v2
	v_lshl_or_b32 v8, v8, 9, v2
	v_cndmask_b32_e64 v4, 0, 1, vcc
	v_cmp_ne_u32_e32 vcc, v11, v15
	v_or_b32_e32 v4, v17, v4
	v_and_b32_sdwa v1, v1, s14 dst_sel:DWORD dst_unused:UNUSED_PAD src0_sel:WORD_1 src1_sel:DWORD
	v_cndmask_b32_e64 v11, 0, 1, vcc
	v_cmp_gt_i32_e32 vcc, 1, v10
	v_or_b32_e32 v11, v18, v11
	v_lshrrev_b32_e32 v9, 16, v9
	v_cndmask_b32_e32 v4, v14, v4, vcc
	v_cmp_gt_i32_e32 vcc, 1, v12
	v_and_b32_e32 v13, 7, v4
	v_cmp_eq_u32_e64 s[0:1], 3, v13
	v_cndmask_b32_e32 v11, v16, v11, vcc
	v_cmp_lt_i32_e32 vcc, 5, v13
	v_lshrrev_b32_e32 v4, 2, v4
	v_and_b32_e32 v14, 7, v11
	s_or_b64 vcc, s[0:1], vcc
	v_cmp_lt_i32_e64 s[2:3], 5, v14
	v_cmp_eq_u32_e64 s[4:5], 3, v14
	v_addc_co_u32_e32 v4, vcc, 0, v4, vcc
	v_lshrrev_b32_e32 v11, 2, v11
	s_or_b64 vcc, s[4:5], s[2:3]
	v_addc_co_u32_e32 v11, vcc, 0, v11, vcc
	v_cmp_gt_i32_e32 vcc, 31, v10
	v_add_u32_e32 v7, s9, v7
	s_movk_i32 s0, 0x1000
	v_cndmask_b32_e32 v4, v2, v4, vcc
	v_cmp_gt_i32_e32 vcc, 31, v12
	s_nop 1
	v_cndmask_b32_e32 v11, v2, v11, vcc
	v_cmp_eq_u32_e32 vcc, s10, v10
	s_nop 1
	v_cndmask_b32_e32 v0, v4, v0, vcc
	v_cmp_eq_u32_e32 vcc, s10, v12
	v_bitop3_b32 v0, v1, s17, v0 bitop3:0xc8
	s_nop 0
	v_cndmask_b32_e32 v4, v11, v8, vcc
	v_and_or_b32 v4, v9, s14, v4
	v_lshl_or_b32 v0, v4, 16, v0
	global_store_dword v[6:7], v0, off
	global_load_dword v4, v28, s[12:13] offset:3744
	v_lshrrev_b32_e32 v8, 16, v5
	v_lshl_add_u64 v[0:1], s[12:13], 0, v[28:29]
	v_add_co_u32_e32 v0, vcc, s0, v0
	s_waitcnt vmcnt(0)
	v_mul_f16_sdwa v9, v8, v4 dst_sel:DWORD dst_unused:UNUSED_PAD src0_sel:DWORD src1_sel:WORD_1
	v_mul_f16_sdwa v10, v5, v4 dst_sel:DWORD dst_unused:UNUSED_PAD src0_sel:DWORD src1_sel:WORD_1
	v_fma_f16 v5, v5, v4, v9
	v_fma_f16 v4, v4, v8, -v10
	v_cvt_f32_f16_e32 v8, v5
	v_cvt_f32_f16_e32 v9, v4
	v_mad_u64_u32 v[4:5], s[0:1], s8, v3, v[6:7]
	v_cvt_f64_f32_e32 v[6:7], v8
	v_cvt_f64_f32_e32 v[8:9], v9
	v_mul_f64 v[6:7], v[6:7], s[6:7]
	v_addc_co_u32_e32 v1, vcc, 0, v1, vcc
	v_mul_f64 v[8:9], v[8:9], s[6:7]
	v_and_or_b32 v6, v7, s16, v6
	v_and_or_b32 v8, v9, s16, v8
	v_cmp_ne_u32_e32 vcc, 0, v6
	v_lshrrev_b32_e32 v10, 8, v7
	v_bfe_u32 v11, v7, 20, 11
	v_cndmask_b32_e64 v6, 0, 1, vcc
	v_cmp_ne_u32_e32 vcc, 0, v8
	v_lshrrev_b32_e32 v12, 8, v9
	v_bfe_u32 v13, v9, 20, 11
	v_sub_u32_e32 v14, 0x3f1, v11
	v_cndmask_b32_e64 v8, 0, 1, vcc
	v_and_or_b32 v6, v10, s15, v6
	v_sub_u32_e32 v15, 0x3f1, v13
	v_med3_i32 v10, v14, 0, 13
	v_and_or_b32 v8, v12, s15, v8
	v_or_b32_e32 v14, 0x1000, v6
	v_add_u32_e32 v11, 0xfffffc10, v11
	v_med3_i32 v12, v15, 0, 13
	v_cmp_ne_u32_e32 vcc, 0, v6
	v_or_b32_e32 v16, 0x1000, v8
	v_lshrrev_b32_e32 v18, v10, v14
	v_add_u32_e32 v13, 0xfffffc10, v13
	v_lshl_or_b32 v15, v11, 12, v6
	v_cndmask_b32_e64 v6, 0, 1, vcc
	v_cmp_ne_u32_e32 vcc, 0, v8
	v_lshrrev_b32_e32 v19, v12, v16
	v_lshlrev_b32_e32 v10, v10, v18
	v_lshl_or_b32 v17, v13, 12, v8
	v_cndmask_b32_e64 v8, 0, 1, vcc
	v_lshlrev_b32_e32 v12, v12, v19
	v_cmp_ne_u32_e32 vcc, v10, v14
	v_lshl_or_b32 v6, v6, 9, v2
	v_lshl_or_b32 v8, v8, 9, v2
	v_cndmask_b32_e64 v10, 0, 1, vcc
	v_cmp_ne_u32_e32 vcc, v12, v16
	v_or_b32_e32 v10, v18, v10
	v_and_b32_sdwa v7, v7, s14 dst_sel:DWORD dst_unused:UNUSED_PAD src0_sel:WORD_1 src1_sel:DWORD
	v_cndmask_b32_e64 v12, 0, 1, vcc
	v_cmp_gt_i32_e32 vcc, 1, v11
	v_or_b32_e32 v12, v19, v12
	v_lshrrev_b32_e32 v9, 16, v9
	v_cndmask_b32_e32 v10, v15, v10, vcc
	v_cmp_gt_i32_e32 vcc, 1, v13
	v_and_b32_e32 v14, 7, v10
	v_cmp_eq_u32_e64 s[0:1], 3, v14
	v_cndmask_b32_e32 v12, v17, v12, vcc
	v_cmp_lt_i32_e32 vcc, 5, v14
	v_lshrrev_b32_e32 v10, 2, v10
	v_and_b32_e32 v15, 7, v12
	s_or_b64 vcc, s[0:1], vcc
	v_cmp_lt_i32_e64 s[2:3], 5, v15
	v_cmp_eq_u32_e64 s[4:5], 3, v15
	v_addc_co_u32_e32 v10, vcc, 0, v10, vcc
	v_lshrrev_b32_e32 v12, 2, v12
	s_or_b64 vcc, s[4:5], s[2:3]
	v_addc_co_u32_e32 v12, vcc, 0, v12, vcc
	v_cmp_gt_i32_e32 vcc, 31, v11
	v_add_u32_e32 v5, s9, v5
	s_nop 0
	v_cndmask_b32_e32 v10, v2, v10, vcc
	v_cmp_gt_i32_e32 vcc, 31, v13
	s_nop 1
	v_cndmask_b32_e32 v12, v2, v12, vcc
	v_cmp_eq_u32_e32 vcc, s10, v11
	s_nop 1
	v_cndmask_b32_e32 v6, v10, v6, vcc
	v_cmp_eq_u32_e32 vcc, s10, v13
	v_bitop3_b32 v6, v7, s17, v6 bitop3:0xc8
	s_nop 0
	v_cndmask_b32_e32 v8, v12, v8, vcc
	v_and_or_b32 v8, v9, s14, v8
	v_lshl_or_b32 v6, v8, 16, v6
	global_store_dword v[4:5], v6, off
	global_load_dword v8, v[0:1], off offset:116
	v_add_u32_e32 v6, 0x1000, v28
	ds_read2_b32 v[6:7], v6 offset0:29 offset1:146
	v_mad_u64_u32 v[4:5], s[0:1], s8, v3, v[4:5]
	v_add_u32_e32 v5, s9, v5
	s_waitcnt lgkmcnt(0)
	v_lshrrev_b32_e32 v9, 16, v6
	s_waitcnt vmcnt(0)
	v_mul_f16_sdwa v10, v9, v8 dst_sel:DWORD dst_unused:UNUSED_PAD src0_sel:DWORD src1_sel:WORD_1
	v_mul_f16_sdwa v11, v6, v8 dst_sel:DWORD dst_unused:UNUSED_PAD src0_sel:DWORD src1_sel:WORD_1
	v_fma_f16 v6, v6, v8, v10
	v_fma_f16 v8, v8, v9, -v11
	v_cvt_f32_f16_e32 v6, v6
	v_cvt_f32_f16_e32 v10, v8
	v_cvt_f64_f32_e32 v[8:9], v6
	v_cvt_f64_f32_e32 v[10:11], v10
	v_mul_f64 v[8:9], v[8:9], s[6:7]
	v_mul_f64 v[10:11], v[10:11], s[6:7]
	v_and_or_b32 v6, v9, s16, v8
	v_and_or_b32 v10, v11, s16, v10
	v_cmp_ne_u32_e32 vcc, 0, v6
	v_lshrrev_b32_e32 v8, 8, v9
	v_bfe_u32 v12, v9, 20, 11
	v_cndmask_b32_e64 v6, 0, 1, vcc
	v_cmp_ne_u32_e32 vcc, 0, v10
	v_lshrrev_b32_e32 v13, 8, v11
	v_bfe_u32 v14, v11, 20, 11
	v_sub_u32_e32 v15, 0x3f1, v12
	v_cndmask_b32_e64 v10, 0, 1, vcc
	v_and_or_b32 v6, v8, s15, v6
	v_sub_u32_e32 v16, 0x3f1, v14
	v_med3_i32 v8, v15, 0, 13
	v_and_or_b32 v10, v13, s15, v10
	v_or_b32_e32 v15, 0x1000, v6
	v_add_u32_e32 v12, 0xfffffc10, v12
	v_med3_i32 v13, v16, 0, 13
	v_cmp_ne_u32_e32 vcc, 0, v6
	v_or_b32_e32 v17, 0x1000, v10
	v_lshrrev_b32_e32 v19, v8, v15
	v_add_u32_e32 v14, 0xfffffc10, v14
	v_lshl_or_b32 v16, v12, 12, v6
	v_cndmask_b32_e64 v6, 0, 1, vcc
	v_cmp_ne_u32_e32 vcc, 0, v10
	v_lshrrev_b32_e32 v20, v13, v17
	v_lshlrev_b32_e32 v8, v8, v19
	v_lshl_or_b32 v18, v14, 12, v10
	v_cndmask_b32_e64 v10, 0, 1, vcc
	v_lshlrev_b32_e32 v13, v13, v20
	v_cmp_ne_u32_e32 vcc, v8, v15
	v_lshl_or_b32 v6, v6, 9, v2
	v_lshl_or_b32 v10, v10, 9, v2
	v_cndmask_b32_e64 v8, 0, 1, vcc
	v_cmp_ne_u32_e32 vcc, v13, v17
	v_or_b32_e32 v8, v19, v8
	v_and_b32_sdwa v9, v9, s14 dst_sel:DWORD dst_unused:UNUSED_PAD src0_sel:WORD_1 src1_sel:DWORD
	v_cndmask_b32_e64 v13, 0, 1, vcc
	v_cmp_gt_i32_e32 vcc, 1, v12
	v_or_b32_e32 v13, v20, v13
	v_lshrrev_b32_e32 v11, 16, v11
	v_cndmask_b32_e32 v8, v16, v8, vcc
	v_cmp_gt_i32_e32 vcc, 1, v14
	v_and_b32_e32 v15, 7, v8
	v_cmp_eq_u32_e64 s[0:1], 3, v15
	v_cndmask_b32_e32 v13, v18, v13, vcc
	v_cmp_lt_i32_e32 vcc, 5, v15
	v_lshrrev_b32_e32 v8, 2, v8
	v_and_b32_e32 v16, 7, v13
	s_or_b64 vcc, s[0:1], vcc
	v_cmp_lt_i32_e64 s[2:3], 5, v16
	v_cmp_eq_u32_e64 s[4:5], 3, v16
	v_addc_co_u32_e32 v8, vcc, 0, v8, vcc
	v_lshrrev_b32_e32 v13, 2, v13
	s_or_b64 vcc, s[4:5], s[2:3]
	v_addc_co_u32_e32 v13, vcc, 0, v13, vcc
	v_cmp_gt_i32_e32 vcc, 31, v12
	s_nop 1
	v_cndmask_b32_e32 v8, v2, v8, vcc
	v_cmp_gt_i32_e32 vcc, 31, v14
	s_nop 1
	v_cndmask_b32_e32 v13, v2, v13, vcc
	v_cmp_eq_u32_e32 vcc, s10, v12
	s_nop 1
	v_cndmask_b32_e32 v6, v8, v6, vcc
	v_cmp_eq_u32_e32 vcc, s10, v14
	v_bitop3_b32 v6, v9, s17, v6 bitop3:0xc8
	s_nop 0
	v_cndmask_b32_e32 v8, v13, v10, vcc
	v_and_or_b32 v8, v11, s14, v8
	v_lshl_or_b32 v6, v8, 16, v6
	global_store_dword v[4:5], v6, off
	global_load_dword v6, v[0:1], off offset:584
	v_lshrrev_b32_e32 v8, 16, v7
	v_mad_u64_u32 v[4:5], s[0:1], s8, v3, v[4:5]
	v_add_u32_e32 v5, s9, v5
	s_waitcnt vmcnt(0)
	v_mul_f16_sdwa v9, v8, v6 dst_sel:DWORD dst_unused:UNUSED_PAD src0_sel:DWORD src1_sel:WORD_1
	v_mul_f16_sdwa v10, v7, v6 dst_sel:DWORD dst_unused:UNUSED_PAD src0_sel:DWORD src1_sel:WORD_1
	v_fma_f16 v7, v7, v6, v9
	v_fma_f16 v6, v6, v8, -v10
	v_cvt_f32_f16_e32 v7, v7
	v_cvt_f32_f16_e32 v8, v6
	v_cvt_f64_f32_e32 v[6:7], v7
	v_cvt_f64_f32_e32 v[8:9], v8
	v_mul_f64 v[6:7], v[6:7], s[6:7]
	v_mul_f64 v[8:9], v[8:9], s[6:7]
	v_and_or_b32 v6, v7, s16, v6
	v_and_or_b32 v8, v9, s16, v8
	v_cmp_ne_u32_e32 vcc, 0, v6
	v_lshrrev_b32_e32 v10, 8, v7
	v_bfe_u32 v11, v7, 20, 11
	v_cndmask_b32_e64 v6, 0, 1, vcc
	v_cmp_ne_u32_e32 vcc, 0, v8
	v_lshrrev_b32_e32 v12, 8, v9
	v_bfe_u32 v13, v9, 20, 11
	v_sub_u32_e32 v14, 0x3f1, v11
	v_cndmask_b32_e64 v8, 0, 1, vcc
	v_and_or_b32 v6, v10, s15, v6
	v_sub_u32_e32 v15, 0x3f1, v13
	v_med3_i32 v10, v14, 0, 13
	v_and_or_b32 v8, v12, s15, v8
	v_or_b32_e32 v14, 0x1000, v6
	v_add_u32_e32 v11, 0xfffffc10, v11
	v_med3_i32 v12, v15, 0, 13
	v_cmp_ne_u32_e32 vcc, 0, v6
	v_or_b32_e32 v16, 0x1000, v8
	v_lshrrev_b32_e32 v18, v10, v14
	v_add_u32_e32 v13, 0xfffffc10, v13
	v_lshl_or_b32 v15, v11, 12, v6
	v_cndmask_b32_e64 v6, 0, 1, vcc
	v_cmp_ne_u32_e32 vcc, 0, v8
	v_lshrrev_b32_e32 v19, v12, v16
	v_lshlrev_b32_e32 v10, v10, v18
	v_lshl_or_b32 v17, v13, 12, v8
	v_cndmask_b32_e64 v8, 0, 1, vcc
	v_lshlrev_b32_e32 v12, v12, v19
	v_cmp_ne_u32_e32 vcc, v10, v14
	v_lshl_or_b32 v6, v6, 9, v2
	v_lshl_or_b32 v8, v8, 9, v2
	v_cndmask_b32_e64 v10, 0, 1, vcc
	v_cmp_ne_u32_e32 vcc, v12, v16
	v_or_b32_e32 v10, v18, v10
	v_and_b32_sdwa v7, v7, s14 dst_sel:DWORD dst_unused:UNUSED_PAD src0_sel:WORD_1 src1_sel:DWORD
	v_cndmask_b32_e64 v12, 0, 1, vcc
	v_cmp_gt_i32_e32 vcc, 1, v11
	v_or_b32_e32 v12, v19, v12
	v_lshrrev_b32_e32 v9, 16, v9
	v_cndmask_b32_e32 v10, v15, v10, vcc
	v_cmp_gt_i32_e32 vcc, 1, v13
	v_and_b32_e32 v14, 7, v10
	v_cmp_eq_u32_e64 s[0:1], 3, v14
	v_cndmask_b32_e32 v12, v17, v12, vcc
	v_cmp_lt_i32_e32 vcc, 5, v14
	v_lshrrev_b32_e32 v10, 2, v10
	v_and_b32_e32 v15, 7, v12
	s_or_b64 vcc, s[0:1], vcc
	v_cmp_lt_i32_e64 s[2:3], 5, v15
	v_cmp_eq_u32_e64 s[4:5], 3, v15
	v_addc_co_u32_e32 v10, vcc, 0, v10, vcc
	v_lshrrev_b32_e32 v12, 2, v12
	s_or_b64 vcc, s[4:5], s[2:3]
	v_addc_co_u32_e32 v12, vcc, 0, v12, vcc
	v_cmp_gt_i32_e32 vcc, 31, v11
	s_nop 1
	v_cndmask_b32_e32 v10, v2, v10, vcc
	v_cmp_gt_i32_e32 vcc, 31, v13
	s_nop 1
	v_cndmask_b32_e32 v12, v2, v12, vcc
	v_cmp_eq_u32_e32 vcc, s10, v11
	s_nop 1
	v_cndmask_b32_e32 v6, v10, v6, vcc
	v_cmp_eq_u32_e32 vcc, s10, v13
	v_bitop3_b32 v6, v7, s17, v6 bitop3:0xc8
	s_nop 0
	v_cndmask_b32_e32 v8, v12, v8, vcc
	v_and_or_b32 v8, v9, s14, v8
	v_lshl_or_b32 v6, v8, 16, v6
	global_store_dword v[4:5], v6, off
	global_load_dword v8, v[0:1], off offset:1052
	v_add_u32_e32 v6, 0x1400, v28
	ds_read2_b32 v[6:7], v6 offset0:7 offset1:124
	v_mad_u64_u32 v[4:5], s[0:1], s8, v3, v[4:5]
	v_add_u32_e32 v5, s9, v5
	s_waitcnt lgkmcnt(0)
	v_lshrrev_b32_e32 v9, 16, v6
	s_waitcnt vmcnt(0)
	v_mul_f16_sdwa v10, v9, v8 dst_sel:DWORD dst_unused:UNUSED_PAD src0_sel:DWORD src1_sel:WORD_1
	v_mul_f16_sdwa v11, v6, v8 dst_sel:DWORD dst_unused:UNUSED_PAD src0_sel:DWORD src1_sel:WORD_1
	v_fma_f16 v6, v6, v8, v10
	v_fma_f16 v8, v8, v9, -v11
	v_cvt_f32_f16_e32 v6, v6
	v_cvt_f32_f16_e32 v10, v8
	v_cvt_f64_f32_e32 v[8:9], v6
	v_cvt_f64_f32_e32 v[10:11], v10
	v_mul_f64 v[8:9], v[8:9], s[6:7]
	v_mul_f64 v[10:11], v[10:11], s[6:7]
	v_and_or_b32 v6, v9, s16, v8
	v_and_or_b32 v10, v11, s16, v10
	v_cmp_ne_u32_e32 vcc, 0, v6
	v_lshrrev_b32_e32 v8, 8, v9
	v_bfe_u32 v12, v9, 20, 11
	v_cndmask_b32_e64 v6, 0, 1, vcc
	v_cmp_ne_u32_e32 vcc, 0, v10
	v_lshrrev_b32_e32 v13, 8, v11
	v_bfe_u32 v14, v11, 20, 11
	v_sub_u32_e32 v15, 0x3f1, v12
	v_cndmask_b32_e64 v10, 0, 1, vcc
	v_and_or_b32 v6, v8, s15, v6
	v_sub_u32_e32 v16, 0x3f1, v14
	v_med3_i32 v8, v15, 0, 13
	v_and_or_b32 v10, v13, s15, v10
	v_or_b32_e32 v15, 0x1000, v6
	v_add_u32_e32 v12, 0xfffffc10, v12
	v_med3_i32 v13, v16, 0, 13
	v_cmp_ne_u32_e32 vcc, 0, v6
	v_or_b32_e32 v17, 0x1000, v10
	v_lshrrev_b32_e32 v19, v8, v15
	v_add_u32_e32 v14, 0xfffffc10, v14
	v_lshl_or_b32 v16, v12, 12, v6
	v_cndmask_b32_e64 v6, 0, 1, vcc
	v_cmp_ne_u32_e32 vcc, 0, v10
	v_lshrrev_b32_e32 v20, v13, v17
	v_lshlrev_b32_e32 v8, v8, v19
	v_lshl_or_b32 v18, v14, 12, v10
	v_cndmask_b32_e64 v10, 0, 1, vcc
	v_lshlrev_b32_e32 v13, v13, v20
	v_cmp_ne_u32_e32 vcc, v8, v15
	v_lshl_or_b32 v6, v6, 9, v2
	v_lshl_or_b32 v10, v10, 9, v2
	v_cndmask_b32_e64 v8, 0, 1, vcc
	v_cmp_ne_u32_e32 vcc, v13, v17
	v_or_b32_e32 v8, v19, v8
	v_and_b32_sdwa v9, v9, s14 dst_sel:DWORD dst_unused:UNUSED_PAD src0_sel:WORD_1 src1_sel:DWORD
	v_cndmask_b32_e64 v13, 0, 1, vcc
	v_cmp_gt_i32_e32 vcc, 1, v12
	v_or_b32_e32 v13, v20, v13
	v_lshrrev_b32_e32 v11, 16, v11
	v_cndmask_b32_e32 v8, v16, v8, vcc
	v_cmp_gt_i32_e32 vcc, 1, v14
	v_and_b32_e32 v15, 7, v8
	v_cmp_eq_u32_e64 s[0:1], 3, v15
	v_cndmask_b32_e32 v13, v18, v13, vcc
	v_cmp_lt_i32_e32 vcc, 5, v15
	v_lshrrev_b32_e32 v8, 2, v8
	v_and_b32_e32 v16, 7, v13
	s_or_b64 vcc, s[0:1], vcc
	v_cmp_lt_i32_e64 s[2:3], 5, v16
	v_cmp_eq_u32_e64 s[4:5], 3, v16
	v_addc_co_u32_e32 v8, vcc, 0, v8, vcc
	v_lshrrev_b32_e32 v13, 2, v13
	s_or_b64 vcc, s[4:5], s[2:3]
	v_addc_co_u32_e32 v13, vcc, 0, v13, vcc
	v_cmp_gt_i32_e32 vcc, 31, v12
	s_nop 1
	v_cndmask_b32_e32 v8, v2, v8, vcc
	v_cmp_gt_i32_e32 vcc, 31, v14
	s_nop 1
	v_cndmask_b32_e32 v13, v2, v13, vcc
	v_cmp_eq_u32_e32 vcc, s10, v12
	s_nop 1
	v_cndmask_b32_e32 v6, v8, v6, vcc
	v_cmp_eq_u32_e32 vcc, s10, v14
	v_bitop3_b32 v6, v9, s17, v6 bitop3:0xc8
	s_nop 0
	v_cndmask_b32_e32 v8, v13, v10, vcc
	v_and_or_b32 v8, v11, s14, v8
	v_lshl_or_b32 v6, v8, 16, v6
	global_store_dword v[4:5], v6, off
	global_load_dword v6, v[0:1], off offset:1520
	v_lshrrev_b32_e32 v8, 16, v7
	v_mad_u64_u32 v[4:5], s[0:1], s8, v3, v[4:5]
	v_add_u32_e32 v5, s9, v5
	s_waitcnt vmcnt(0)
	v_mul_f16_sdwa v9, v8, v6 dst_sel:DWORD dst_unused:UNUSED_PAD src0_sel:DWORD src1_sel:WORD_1
	v_mul_f16_sdwa v10, v7, v6 dst_sel:DWORD dst_unused:UNUSED_PAD src0_sel:DWORD src1_sel:WORD_1
	v_fma_f16 v7, v7, v6, v9
	v_fma_f16 v6, v6, v8, -v10
	v_cvt_f32_f16_e32 v7, v7
	v_cvt_f32_f16_e32 v8, v6
	v_cvt_f64_f32_e32 v[6:7], v7
	v_cvt_f64_f32_e32 v[8:9], v8
	v_mul_f64 v[6:7], v[6:7], s[6:7]
	v_mul_f64 v[8:9], v[8:9], s[6:7]
	v_and_or_b32 v6, v7, s16, v6
	v_and_or_b32 v8, v9, s16, v8
	v_cmp_ne_u32_e32 vcc, 0, v6
	v_lshrrev_b32_e32 v10, 8, v7
	v_bfe_u32 v11, v7, 20, 11
	v_cndmask_b32_e64 v6, 0, 1, vcc
	v_cmp_ne_u32_e32 vcc, 0, v8
	v_lshrrev_b32_e32 v12, 8, v9
	v_bfe_u32 v13, v9, 20, 11
	v_sub_u32_e32 v14, 0x3f1, v11
	v_cndmask_b32_e64 v8, 0, 1, vcc
	v_and_or_b32 v6, v10, s15, v6
	v_sub_u32_e32 v15, 0x3f1, v13
	v_med3_i32 v10, v14, 0, 13
	v_and_or_b32 v8, v12, s15, v8
	v_or_b32_e32 v14, 0x1000, v6
	v_add_u32_e32 v11, 0xfffffc10, v11
	v_med3_i32 v12, v15, 0, 13
	v_cmp_ne_u32_e32 vcc, 0, v6
	v_or_b32_e32 v16, 0x1000, v8
	v_lshrrev_b32_e32 v18, v10, v14
	v_add_u32_e32 v13, 0xfffffc10, v13
	v_lshl_or_b32 v15, v11, 12, v6
	v_cndmask_b32_e64 v6, 0, 1, vcc
	v_cmp_ne_u32_e32 vcc, 0, v8
	v_lshrrev_b32_e32 v19, v12, v16
	v_lshlrev_b32_e32 v10, v10, v18
	v_lshl_or_b32 v17, v13, 12, v8
	v_cndmask_b32_e64 v8, 0, 1, vcc
	v_lshlrev_b32_e32 v12, v12, v19
	v_cmp_ne_u32_e32 vcc, v10, v14
	v_lshl_or_b32 v6, v6, 9, v2
	v_lshl_or_b32 v8, v8, 9, v2
	v_cndmask_b32_e64 v10, 0, 1, vcc
	v_cmp_ne_u32_e32 vcc, v12, v16
	v_or_b32_e32 v10, v18, v10
	v_and_b32_sdwa v7, v7, s14 dst_sel:DWORD dst_unused:UNUSED_PAD src0_sel:WORD_1 src1_sel:DWORD
	v_cndmask_b32_e64 v12, 0, 1, vcc
	v_cmp_gt_i32_e32 vcc, 1, v11
	v_or_b32_e32 v12, v19, v12
	v_lshrrev_b32_e32 v9, 16, v9
	v_cndmask_b32_e32 v10, v15, v10, vcc
	v_cmp_gt_i32_e32 vcc, 1, v13
	v_and_b32_e32 v14, 7, v10
	v_cmp_eq_u32_e64 s[0:1], 3, v14
	v_cndmask_b32_e32 v12, v17, v12, vcc
	v_cmp_lt_i32_e32 vcc, 5, v14
	v_lshrrev_b32_e32 v10, 2, v10
	v_and_b32_e32 v15, 7, v12
	s_or_b64 vcc, s[0:1], vcc
	v_cmp_lt_i32_e64 s[2:3], 5, v15
	v_cmp_eq_u32_e64 s[4:5], 3, v15
	v_addc_co_u32_e32 v10, vcc, 0, v10, vcc
	v_lshrrev_b32_e32 v12, 2, v12
	s_or_b64 vcc, s[4:5], s[2:3]
	v_addc_co_u32_e32 v12, vcc, 0, v12, vcc
	v_cmp_gt_i32_e32 vcc, 31, v11
	s_nop 1
	v_cndmask_b32_e32 v10, v2, v10, vcc
	v_cmp_gt_i32_e32 vcc, 31, v13
	s_nop 1
	v_cndmask_b32_e32 v12, v2, v12, vcc
	v_cmp_eq_u32_e32 vcc, s10, v11
	s_nop 1
	v_cndmask_b32_e32 v6, v10, v6, vcc
	v_cmp_eq_u32_e32 vcc, s10, v13
	v_bitop3_b32 v6, v7, s17, v6 bitop3:0xc8
	s_nop 0
	v_cndmask_b32_e32 v8, v12, v8, vcc
	v_and_or_b32 v8, v9, s14, v8
	v_lshl_or_b32 v6, v8, 16, v6
	global_store_dword v[4:5], v6, off
	global_load_dword v8, v[0:1], off offset:1988
	v_add_u32_e32 v6, 0x1600, v28
	ds_read2_b32 v[6:7], v6 offset0:113 offset1:230
	v_mad_u64_u32 v[4:5], s[0:1], s8, v3, v[4:5]
	v_add_u32_e32 v5, s9, v5
	s_waitcnt lgkmcnt(0)
	v_lshrrev_b32_e32 v9, 16, v6
	s_waitcnt vmcnt(0)
	v_mul_f16_sdwa v10, v9, v8 dst_sel:DWORD dst_unused:UNUSED_PAD src0_sel:DWORD src1_sel:WORD_1
	v_mul_f16_sdwa v11, v6, v8 dst_sel:DWORD dst_unused:UNUSED_PAD src0_sel:DWORD src1_sel:WORD_1
	v_fma_f16 v6, v6, v8, v10
	v_fma_f16 v8, v8, v9, -v11
	v_cvt_f32_f16_e32 v6, v6
	v_cvt_f32_f16_e32 v10, v8
	v_cvt_f64_f32_e32 v[8:9], v6
	v_cvt_f64_f32_e32 v[10:11], v10
	v_mul_f64 v[8:9], v[8:9], s[6:7]
	v_mul_f64 v[10:11], v[10:11], s[6:7]
	v_and_or_b32 v6, v9, s16, v8
	v_and_or_b32 v10, v11, s16, v10
	v_cmp_ne_u32_e32 vcc, 0, v6
	v_lshrrev_b32_e32 v8, 8, v9
	v_bfe_u32 v12, v9, 20, 11
	v_cndmask_b32_e64 v6, 0, 1, vcc
	v_cmp_ne_u32_e32 vcc, 0, v10
	v_lshrrev_b32_e32 v13, 8, v11
	v_bfe_u32 v14, v11, 20, 11
	v_sub_u32_e32 v15, 0x3f1, v12
	v_cndmask_b32_e64 v10, 0, 1, vcc
	v_and_or_b32 v6, v8, s15, v6
	v_sub_u32_e32 v16, 0x3f1, v14
	v_med3_i32 v8, v15, 0, 13
	v_and_or_b32 v10, v13, s15, v10
	v_or_b32_e32 v15, 0x1000, v6
	v_add_u32_e32 v12, 0xfffffc10, v12
	v_med3_i32 v13, v16, 0, 13
	v_cmp_ne_u32_e32 vcc, 0, v6
	v_or_b32_e32 v17, 0x1000, v10
	v_lshrrev_b32_e32 v19, v8, v15
	v_add_u32_e32 v14, 0xfffffc10, v14
	v_lshl_or_b32 v16, v12, 12, v6
	v_cndmask_b32_e64 v6, 0, 1, vcc
	v_cmp_ne_u32_e32 vcc, 0, v10
	v_lshrrev_b32_e32 v20, v13, v17
	v_lshlrev_b32_e32 v8, v8, v19
	v_lshl_or_b32 v18, v14, 12, v10
	v_cndmask_b32_e64 v10, 0, 1, vcc
	v_lshlrev_b32_e32 v13, v13, v20
	v_cmp_ne_u32_e32 vcc, v8, v15
	v_lshl_or_b32 v6, v6, 9, v2
	v_lshl_or_b32 v10, v10, 9, v2
	v_cndmask_b32_e64 v8, 0, 1, vcc
	v_cmp_ne_u32_e32 vcc, v13, v17
	v_or_b32_e32 v8, v19, v8
	v_and_b32_sdwa v9, v9, s14 dst_sel:DWORD dst_unused:UNUSED_PAD src0_sel:WORD_1 src1_sel:DWORD
	v_cndmask_b32_e64 v13, 0, 1, vcc
	v_cmp_gt_i32_e32 vcc, 1, v12
	v_or_b32_e32 v13, v20, v13
	v_lshrrev_b32_e32 v11, 16, v11
	v_cndmask_b32_e32 v8, v16, v8, vcc
	v_cmp_gt_i32_e32 vcc, 1, v14
	v_and_b32_e32 v15, 7, v8
	v_cmp_eq_u32_e64 s[0:1], 3, v15
	v_cndmask_b32_e32 v13, v18, v13, vcc
	v_cmp_lt_i32_e32 vcc, 5, v15
	v_lshrrev_b32_e32 v8, 2, v8
	v_and_b32_e32 v16, 7, v13
	s_or_b64 vcc, s[0:1], vcc
	v_cmp_lt_i32_e64 s[2:3], 5, v16
	v_cmp_eq_u32_e64 s[4:5], 3, v16
	v_addc_co_u32_e32 v8, vcc, 0, v8, vcc
	v_lshrrev_b32_e32 v13, 2, v13
	s_or_b64 vcc, s[4:5], s[2:3]
	v_addc_co_u32_e32 v13, vcc, 0, v13, vcc
	v_cmp_gt_i32_e32 vcc, 31, v12
	s_nop 1
	v_cndmask_b32_e32 v8, v2, v8, vcc
	v_cmp_gt_i32_e32 vcc, 31, v14
	s_nop 1
	v_cndmask_b32_e32 v13, v2, v13, vcc
	v_cmp_eq_u32_e32 vcc, s10, v12
	s_nop 1
	v_cndmask_b32_e32 v6, v8, v6, vcc
	v_cmp_eq_u32_e32 vcc, s10, v14
	v_bitop3_b32 v6, v9, s17, v6 bitop3:0xc8
	s_nop 0
	v_cndmask_b32_e32 v8, v13, v10, vcc
	v_and_or_b32 v8, v11, s14, v8
	v_lshl_or_b32 v6, v8, 16, v6
	global_store_dword v[4:5], v6, off
	global_load_dword v6, v[0:1], off offset:2456
	v_lshrrev_b32_e32 v8, 16, v7
	v_mad_u64_u32 v[4:5], s[0:1], s8, v3, v[4:5]
	v_add_u32_e32 v5, s9, v5
	s_waitcnt vmcnt(0)
	v_mul_f16_sdwa v9, v8, v6 dst_sel:DWORD dst_unused:UNUSED_PAD src0_sel:DWORD src1_sel:WORD_1
	v_mul_f16_sdwa v10, v7, v6 dst_sel:DWORD dst_unused:UNUSED_PAD src0_sel:DWORD src1_sel:WORD_1
	v_fma_f16 v7, v7, v6, v9
	v_fma_f16 v6, v6, v8, -v10
	v_cvt_f32_f16_e32 v7, v7
	v_cvt_f32_f16_e32 v8, v6
	v_cvt_f64_f32_e32 v[6:7], v7
	v_cvt_f64_f32_e32 v[8:9], v8
	v_mul_f64 v[6:7], v[6:7], s[6:7]
	v_mul_f64 v[8:9], v[8:9], s[6:7]
	v_and_or_b32 v6, v7, s16, v6
	v_and_or_b32 v8, v9, s16, v8
	v_cmp_ne_u32_e32 vcc, 0, v6
	v_lshrrev_b32_e32 v10, 8, v7
	v_bfe_u32 v11, v7, 20, 11
	v_cndmask_b32_e64 v6, 0, 1, vcc
	v_cmp_ne_u32_e32 vcc, 0, v8
	v_lshrrev_b32_e32 v12, 8, v9
	v_bfe_u32 v13, v9, 20, 11
	v_sub_u32_e32 v14, 0x3f1, v11
	v_cndmask_b32_e64 v8, 0, 1, vcc
	v_and_or_b32 v6, v10, s15, v6
	v_sub_u32_e32 v15, 0x3f1, v13
	v_med3_i32 v10, v14, 0, 13
	v_and_or_b32 v8, v12, s15, v8
	v_or_b32_e32 v14, 0x1000, v6
	v_add_u32_e32 v11, 0xfffffc10, v11
	v_med3_i32 v12, v15, 0, 13
	v_cmp_ne_u32_e32 vcc, 0, v6
	v_or_b32_e32 v16, 0x1000, v8
	v_lshrrev_b32_e32 v18, v10, v14
	v_add_u32_e32 v13, 0xfffffc10, v13
	v_lshl_or_b32 v15, v11, 12, v6
	v_cndmask_b32_e64 v6, 0, 1, vcc
	v_cmp_ne_u32_e32 vcc, 0, v8
	v_lshrrev_b32_e32 v19, v12, v16
	v_lshlrev_b32_e32 v10, v10, v18
	v_lshl_or_b32 v17, v13, 12, v8
	v_cndmask_b32_e64 v8, 0, 1, vcc
	v_lshlrev_b32_e32 v12, v12, v19
	v_cmp_ne_u32_e32 vcc, v10, v14
	v_lshl_or_b32 v6, v6, 9, v2
	v_lshl_or_b32 v8, v8, 9, v2
	v_cndmask_b32_e64 v10, 0, 1, vcc
	v_cmp_ne_u32_e32 vcc, v12, v16
	v_or_b32_e32 v10, v18, v10
	v_and_b32_sdwa v7, v7, s14 dst_sel:DWORD dst_unused:UNUSED_PAD src0_sel:WORD_1 src1_sel:DWORD
	v_cndmask_b32_e64 v12, 0, 1, vcc
	v_cmp_gt_i32_e32 vcc, 1, v11
	v_or_b32_e32 v12, v19, v12
	v_lshrrev_b32_e32 v9, 16, v9
	v_cndmask_b32_e32 v10, v15, v10, vcc
	v_cmp_gt_i32_e32 vcc, 1, v13
	v_and_b32_e32 v14, 7, v10
	v_cmp_eq_u32_e64 s[0:1], 3, v14
	v_cndmask_b32_e32 v12, v17, v12, vcc
	v_cmp_lt_i32_e32 vcc, 5, v14
	v_lshrrev_b32_e32 v10, 2, v10
	v_and_b32_e32 v15, 7, v12
	s_or_b64 vcc, s[0:1], vcc
	v_cmp_lt_i32_e64 s[2:3], 5, v15
	v_cmp_eq_u32_e64 s[4:5], 3, v15
	v_addc_co_u32_e32 v10, vcc, 0, v10, vcc
	v_lshrrev_b32_e32 v12, 2, v12
	s_or_b64 vcc, s[4:5], s[2:3]
	v_addc_co_u32_e32 v12, vcc, 0, v12, vcc
	v_cmp_gt_i32_e32 vcc, 31, v11
	s_nop 1
	v_cndmask_b32_e32 v10, v2, v10, vcc
	v_cmp_gt_i32_e32 vcc, 31, v13
	s_nop 1
	v_cndmask_b32_e32 v12, v2, v12, vcc
	v_cmp_eq_u32_e32 vcc, s10, v11
	s_nop 1
	v_cndmask_b32_e32 v6, v10, v6, vcc
	v_cmp_eq_u32_e32 vcc, s10, v13
	v_bitop3_b32 v6, v7, s17, v6 bitop3:0xc8
	s_nop 0
	v_cndmask_b32_e32 v8, v12, v8, vcc
	v_and_or_b32 v8, v9, s14, v8
	v_lshl_or_b32 v6, v8, 16, v6
	global_store_dword v[4:5], v6, off
	global_load_dword v8, v[0:1], off offset:2924
	v_add_u32_e32 v6, 0x1a00, v28
	ds_read2_b32 v[6:7], v6 offset0:91 offset1:208
	v_mad_u64_u32 v[4:5], s[0:1], s8, v3, v[4:5]
	v_add_u32_e32 v5, s9, v5
	s_waitcnt lgkmcnt(0)
	v_lshrrev_b32_e32 v9, 16, v6
	s_waitcnt vmcnt(0)
	v_mul_f16_sdwa v10, v9, v8 dst_sel:DWORD dst_unused:UNUSED_PAD src0_sel:DWORD src1_sel:WORD_1
	v_mul_f16_sdwa v11, v6, v8 dst_sel:DWORD dst_unused:UNUSED_PAD src0_sel:DWORD src1_sel:WORD_1
	v_fma_f16 v6, v6, v8, v10
	v_fma_f16 v8, v8, v9, -v11
	v_cvt_f32_f16_e32 v6, v6
	v_cvt_f32_f16_e32 v10, v8
	v_cvt_f64_f32_e32 v[8:9], v6
	v_cvt_f64_f32_e32 v[10:11], v10
	v_mul_f64 v[8:9], v[8:9], s[6:7]
	v_mul_f64 v[10:11], v[10:11], s[6:7]
	v_and_or_b32 v6, v9, s16, v8
	v_and_or_b32 v10, v11, s16, v10
	v_cmp_ne_u32_e32 vcc, 0, v6
	v_lshrrev_b32_e32 v8, 8, v9
	v_bfe_u32 v12, v9, 20, 11
	v_cndmask_b32_e64 v6, 0, 1, vcc
	v_cmp_ne_u32_e32 vcc, 0, v10
	v_lshrrev_b32_e32 v13, 8, v11
	v_bfe_u32 v14, v11, 20, 11
	v_sub_u32_e32 v15, 0x3f1, v12
	v_cndmask_b32_e64 v10, 0, 1, vcc
	v_and_or_b32 v6, v8, s15, v6
	v_sub_u32_e32 v16, 0x3f1, v14
	v_med3_i32 v8, v15, 0, 13
	v_and_or_b32 v10, v13, s15, v10
	v_or_b32_e32 v15, 0x1000, v6
	v_add_u32_e32 v12, 0xfffffc10, v12
	v_med3_i32 v13, v16, 0, 13
	v_cmp_ne_u32_e32 vcc, 0, v6
	v_or_b32_e32 v17, 0x1000, v10
	v_lshrrev_b32_e32 v19, v8, v15
	v_add_u32_e32 v14, 0xfffffc10, v14
	v_lshl_or_b32 v16, v12, 12, v6
	v_cndmask_b32_e64 v6, 0, 1, vcc
	v_cmp_ne_u32_e32 vcc, 0, v10
	v_lshrrev_b32_e32 v20, v13, v17
	v_lshlrev_b32_e32 v8, v8, v19
	v_lshl_or_b32 v18, v14, 12, v10
	v_cndmask_b32_e64 v10, 0, 1, vcc
	v_lshlrev_b32_e32 v13, v13, v20
	v_cmp_ne_u32_e32 vcc, v8, v15
	v_lshl_or_b32 v6, v6, 9, v2
	v_lshl_or_b32 v10, v10, 9, v2
	v_cndmask_b32_e64 v8, 0, 1, vcc
	v_cmp_ne_u32_e32 vcc, v13, v17
	v_or_b32_e32 v8, v19, v8
	v_and_b32_sdwa v9, v9, s14 dst_sel:DWORD dst_unused:UNUSED_PAD src0_sel:WORD_1 src1_sel:DWORD
	v_cndmask_b32_e64 v13, 0, 1, vcc
	v_cmp_gt_i32_e32 vcc, 1, v12
	v_or_b32_e32 v13, v20, v13
	v_lshrrev_b32_e32 v11, 16, v11
	v_cndmask_b32_e32 v8, v16, v8, vcc
	v_cmp_gt_i32_e32 vcc, 1, v14
	v_and_b32_e32 v15, 7, v8
	v_cmp_eq_u32_e64 s[0:1], 3, v15
	v_cndmask_b32_e32 v13, v18, v13, vcc
	v_cmp_lt_i32_e32 vcc, 5, v15
	v_lshrrev_b32_e32 v8, 2, v8
	v_and_b32_e32 v16, 7, v13
	s_or_b64 vcc, s[0:1], vcc
	v_cmp_lt_i32_e64 s[2:3], 5, v16
	v_cmp_eq_u32_e64 s[4:5], 3, v16
	v_addc_co_u32_e32 v8, vcc, 0, v8, vcc
	v_lshrrev_b32_e32 v13, 2, v13
	s_or_b64 vcc, s[4:5], s[2:3]
	v_addc_co_u32_e32 v13, vcc, 0, v13, vcc
	v_cmp_gt_i32_e32 vcc, 31, v12
	s_nop 1
	v_cndmask_b32_e32 v8, v2, v8, vcc
	v_cmp_gt_i32_e32 vcc, 31, v14
	s_nop 1
	v_cndmask_b32_e32 v13, v2, v13, vcc
	v_cmp_eq_u32_e32 vcc, s10, v12
	s_nop 1
	v_cndmask_b32_e32 v6, v8, v6, vcc
	v_cmp_eq_u32_e32 vcc, s10, v14
	v_bitop3_b32 v6, v9, s17, v6 bitop3:0xc8
	s_nop 0
	v_cndmask_b32_e32 v8, v13, v10, vcc
	v_and_or_b32 v8, v11, s14, v8
	v_lshl_or_b32 v6, v8, 16, v6
	global_store_dword v[4:5], v6, off
	global_load_dword v0, v[0:1], off offset:3392
	v_lshrrev_b32_e32 v1, 16, v7
	s_waitcnt vmcnt(0)
	v_mul_f16_sdwa v6, v1, v0 dst_sel:DWORD dst_unused:UNUSED_PAD src0_sel:DWORD src1_sel:WORD_1
	v_mul_f16_sdwa v8, v7, v0 dst_sel:DWORD dst_unused:UNUSED_PAD src0_sel:DWORD src1_sel:WORD_1
	v_fma_f16 v6, v7, v0, v6
	v_fma_f16 v0, v0, v1, -v8
	v_cvt_f32_f16_e32 v6, v6
	v_cvt_f32_f16_e32 v7, v0
	v_mad_u64_u32 v[0:1], s[0:1], s8, v3, v[4:5]
	v_cvt_f64_f32_e32 v[4:5], v6
	v_cvt_f64_f32_e32 v[6:7], v7
	v_mul_f64 v[4:5], v[4:5], s[6:7]
	v_mul_f64 v[6:7], v[6:7], s[6:7]
	v_and_or_b32 v3, v5, s16, v4
	v_and_or_b32 v6, v7, s16, v6
	v_cmp_ne_u32_e32 vcc, 0, v3
	v_lshrrev_b32_e32 v4, 8, v5
	v_bfe_u32 v8, v5, 20, 11
	v_cndmask_b32_e64 v3, 0, 1, vcc
	v_cmp_ne_u32_e32 vcc, 0, v6
	v_lshrrev_b32_e32 v9, 8, v7
	v_bfe_u32 v10, v7, 20, 11
	v_sub_u32_e32 v11, 0x3f1, v8
	v_cndmask_b32_e64 v6, 0, 1, vcc
	v_and_or_b32 v3, v4, s15, v3
	v_sub_u32_e32 v12, 0x3f1, v10
	v_med3_i32 v4, v11, 0, 13
	v_and_or_b32 v6, v9, s15, v6
	v_or_b32_e32 v11, 0x1000, v3
	v_add_u32_e32 v8, 0xfffffc10, v8
	v_med3_i32 v9, v12, 0, 13
	v_cmp_ne_u32_e32 vcc, 0, v3
	v_or_b32_e32 v13, 0x1000, v6
	v_lshrrev_b32_e32 v15, v4, v11
	v_add_u32_e32 v10, 0xfffffc10, v10
	v_lshl_or_b32 v12, v8, 12, v3
	v_cndmask_b32_e64 v3, 0, 1, vcc
	v_cmp_ne_u32_e32 vcc, 0, v6
	v_lshrrev_b32_e32 v16, v9, v13
	v_lshlrev_b32_e32 v4, v4, v15
	v_lshl_or_b32 v14, v10, 12, v6
	v_cndmask_b32_e64 v6, 0, 1, vcc
	v_lshlrev_b32_e32 v9, v9, v16
	v_cmp_ne_u32_e32 vcc, v4, v11
	v_lshl_or_b32 v3, v3, 9, v2
	v_lshl_or_b32 v6, v6, 9, v2
	v_cndmask_b32_e64 v4, 0, 1, vcc
	v_cmp_ne_u32_e32 vcc, v9, v13
	v_or_b32_e32 v4, v15, v4
	v_and_b32_sdwa v5, v5, s14 dst_sel:DWORD dst_unused:UNUSED_PAD src0_sel:WORD_1 src1_sel:DWORD
	v_cndmask_b32_e64 v9, 0, 1, vcc
	v_cmp_gt_i32_e32 vcc, 1, v8
	v_or_b32_e32 v9, v16, v9
	v_lshrrev_b32_e32 v7, 16, v7
	v_cndmask_b32_e32 v4, v12, v4, vcc
	v_cmp_gt_i32_e32 vcc, 1, v10
	v_and_b32_e32 v11, 7, v4
	v_cmp_eq_u32_e64 s[0:1], 3, v11
	v_cndmask_b32_e32 v9, v14, v9, vcc
	v_cmp_lt_i32_e32 vcc, 5, v11
	v_lshrrev_b32_e32 v4, 2, v4
	v_and_b32_e32 v12, 7, v9
	s_or_b64 vcc, s[0:1], vcc
	v_cmp_lt_i32_e64 s[2:3], 5, v12
	v_cmp_eq_u32_e64 s[4:5], 3, v12
	v_addc_co_u32_e32 v4, vcc, 0, v4, vcc
	v_lshrrev_b32_e32 v9, 2, v9
	s_or_b64 vcc, s[4:5], s[2:3]
	v_addc_co_u32_e32 v9, vcc, 0, v9, vcc
	v_cmp_gt_i32_e32 vcc, 31, v8
	v_add_u32_e32 v1, s9, v1
	s_nop 0
	v_cndmask_b32_e32 v4, v2, v4, vcc
	v_cmp_gt_i32_e32 vcc, 31, v10
	s_nop 1
	v_cndmask_b32_e32 v2, v2, v9, vcc
	v_cmp_eq_u32_e32 vcc, s10, v8
	s_nop 1
	v_cndmask_b32_e32 v3, v4, v3, vcc
	v_cmp_eq_u32_e32 vcc, s10, v10
	v_bitop3_b32 v3, v5, s17, v3 bitop3:0xc8
	s_nop 0
	v_cndmask_b32_e32 v2, v2, v6, vcc
	v_and_or_b32 v2, v7, s14, v2
	v_lshl_or_b32 v2, v2, 16, v3
	global_store_dword v[0:1], v2, off
.LBB0_23:
	s_endpgm
	.section	.rodata,"a",@progbits
	.p2align	6, 0x0
	.amdhsa_kernel bluestein_single_back_len1989_dim1_half_op_CI_CI
		.amdhsa_group_segment_fixed_size 7956
		.amdhsa_private_segment_fixed_size 0
		.amdhsa_kernarg_size 104
		.amdhsa_user_sgpr_count 2
		.amdhsa_user_sgpr_dispatch_ptr 0
		.amdhsa_user_sgpr_queue_ptr 0
		.amdhsa_user_sgpr_kernarg_segment_ptr 1
		.amdhsa_user_sgpr_dispatch_id 0
		.amdhsa_user_sgpr_kernarg_preload_length 0
		.amdhsa_user_sgpr_kernarg_preload_offset 0
		.amdhsa_user_sgpr_private_segment_size 0
		.amdhsa_uses_dynamic_stack 0
		.amdhsa_enable_private_segment 0
		.amdhsa_system_sgpr_workgroup_id_x 1
		.amdhsa_system_sgpr_workgroup_id_y 0
		.amdhsa_system_sgpr_workgroup_id_z 0
		.amdhsa_system_sgpr_workgroup_info 0
		.amdhsa_system_vgpr_workitem_id 0
		.amdhsa_next_free_vgpr 277
		.amdhsa_next_free_sgpr 37
		.amdhsa_accum_offset 256
		.amdhsa_reserve_vcc 1
		.amdhsa_float_round_mode_32 0
		.amdhsa_float_round_mode_16_64 0
		.amdhsa_float_denorm_mode_32 3
		.amdhsa_float_denorm_mode_16_64 3
		.amdhsa_dx10_clamp 1
		.amdhsa_ieee_mode 1
		.amdhsa_fp16_overflow 0
		.amdhsa_tg_split 0
		.amdhsa_exception_fp_ieee_invalid_op 0
		.amdhsa_exception_fp_denorm_src 0
		.amdhsa_exception_fp_ieee_div_zero 0
		.amdhsa_exception_fp_ieee_overflow 0
		.amdhsa_exception_fp_ieee_underflow 0
		.amdhsa_exception_fp_ieee_inexact 0
		.amdhsa_exception_int_div_zero 0
	.end_amdhsa_kernel
	.text
.Lfunc_end0:
	.size	bluestein_single_back_len1989_dim1_half_op_CI_CI, .Lfunc_end0-bluestein_single_back_len1989_dim1_half_op_CI_CI
                                        ; -- End function
	.section	.AMDGPU.csdata,"",@progbits
; Kernel info:
; codeLenInByte = 34536
; NumSgprs: 43
; NumVgprs: 256
; NumAgprs: 21
; TotalNumVgprs: 277
; ScratchSize: 0
; MemoryBound: 0
; FloatMode: 240
; IeeeMode: 1
; LDSByteSize: 7956 bytes/workgroup (compile time only)
; SGPRBlocks: 5
; VGPRBlocks: 34
; NumSGPRsForWavesPerEU: 43
; NumVGPRsForWavesPerEU: 277
; AccumOffset: 256
; Occupancy: 1
; WaveLimiterHint : 1
; COMPUTE_PGM_RSRC2:SCRATCH_EN: 0
; COMPUTE_PGM_RSRC2:USER_SGPR: 2
; COMPUTE_PGM_RSRC2:TRAP_HANDLER: 0
; COMPUTE_PGM_RSRC2:TGID_X_EN: 1
; COMPUTE_PGM_RSRC2:TGID_Y_EN: 0
; COMPUTE_PGM_RSRC2:TGID_Z_EN: 0
; COMPUTE_PGM_RSRC2:TIDIG_COMP_CNT: 0
; COMPUTE_PGM_RSRC3_GFX90A:ACCUM_OFFSET: 63
; COMPUTE_PGM_RSRC3_GFX90A:TG_SPLIT: 0
	.text
	.p2alignl 6, 3212836864
	.fill 256, 4, 3212836864
	.type	__hip_cuid_2c3d38a20ab7ba49,@object ; @__hip_cuid_2c3d38a20ab7ba49
	.section	.bss,"aw",@nobits
	.globl	__hip_cuid_2c3d38a20ab7ba49
__hip_cuid_2c3d38a20ab7ba49:
	.byte	0                               ; 0x0
	.size	__hip_cuid_2c3d38a20ab7ba49, 1

	.ident	"AMD clang version 19.0.0git (https://github.com/RadeonOpenCompute/llvm-project roc-6.4.0 25133 c7fe45cf4b819c5991fe208aaa96edf142730f1d)"
	.section	".note.GNU-stack","",@progbits
	.addrsig
	.addrsig_sym __hip_cuid_2c3d38a20ab7ba49
	.amdgpu_metadata
---
amdhsa.kernels:
  - .agpr_count:     21
    .args:
      - .actual_access:  read_only
        .address_space:  global
        .offset:         0
        .size:           8
        .value_kind:     global_buffer
      - .actual_access:  read_only
        .address_space:  global
        .offset:         8
        .size:           8
        .value_kind:     global_buffer
      - .actual_access:  read_only
        .address_space:  global
        .offset:         16
        .size:           8
        .value_kind:     global_buffer
      - .actual_access:  read_only
        .address_space:  global
        .offset:         24
        .size:           8
        .value_kind:     global_buffer
      - .actual_access:  read_only
        .address_space:  global
        .offset:         32
        .size:           8
        .value_kind:     global_buffer
      - .offset:         40
        .size:           8
        .value_kind:     by_value
      - .address_space:  global
        .offset:         48
        .size:           8
        .value_kind:     global_buffer
      - .address_space:  global
        .offset:         56
        .size:           8
        .value_kind:     global_buffer
      - .address_space:  global
        .offset:         64
        .size:           8
        .value_kind:     global_buffer
      - .address_space:  global
        .offset:         72
        .size:           8
        .value_kind:     global_buffer
      - .offset:         80
        .size:           4
        .value_kind:     by_value
      - .address_space:  global
        .offset:         88
        .size:           8
        .value_kind:     global_buffer
      - .address_space:  global
        .offset:         96
        .size:           8
        .value_kind:     global_buffer
    .group_segment_fixed_size: 7956
    .kernarg_segment_align: 8
    .kernarg_segment_size: 104
    .language:       OpenCL C
    .language_version:
      - 2
      - 0
    .max_flat_workgroup_size: 153
    .name:           bluestein_single_back_len1989_dim1_half_op_CI_CI
    .private_segment_fixed_size: 0
    .sgpr_count:     43
    .sgpr_spill_count: 0
    .symbol:         bluestein_single_back_len1989_dim1_half_op_CI_CI.kd
    .uniform_work_group_size: 1
    .uses_dynamic_stack: false
    .vgpr_count:     277
    .vgpr_spill_count: 0
    .wavefront_size: 64
amdhsa.target:   amdgcn-amd-amdhsa--gfx950
amdhsa.version:
  - 1
  - 2
...

	.end_amdgpu_metadata
